;; amdgpu-corpus repo=ROCm/aiter kind=harvested arch=n/a opt=n/a

/root/src/amdgpu-assembly/repos/ROCm__aiter/hsa/gfx950/fmoe/silu/fmoe_bf16_pertokenInt8_g1u1_silu_1tg_32x256.co:	file format elf64-amdgpu

Disassembly of section .text:

0000000000002e00 <_ZN5aiter43fmoe_bf16_pertokenInt8_g1u1_silu_1tg_32x256E>:
	s_and_b32 s1, s1, 0xffff                                   // 000000002E00: 8601FF01 0000FFFF
	s_load_dwordx2 s[8:9], s[0:1], 0x0                         // 000000002E08: C0060200 00000000
	s_load_dwordx2 s[20:21], s[0:1], 0x10                      // 000000002E10: C0060500 00000010
	s_load_dwordx2 s[24:25], s[0:1], 0x20                      // 000000002E18: C0060600 00000020
	s_load_dwordx2 s[50:51], s[0:1], 0x30                      // 000000002E20: C0060C80 00000030
	s_load_dwordx2 s[12:13], s[0:1], 0x40                      // 000000002E28: C0060300 00000040
	s_load_dwordx2 s[28:29], s[0:1], 0x50                      // 000000002E30: C0060700 00000050
	s_load_dwordx2 s[32:33], s[0:1], 0x60                      // 000000002E38: C0060800 00000060
	s_load_dwordx2 s[16:17], s[0:1], 0x70                      // 000000002E40: C0060400 00000070
	s_load_dwordx2 s[36:37], s[0:1], 0x80                      // 000000002E48: C0060900 00000080
	s_load_dwordx2 s[44:45], s[0:1], 0x90                      // 000000002E50: C0060B00 00000090
	s_load_dwordx2 s[40:41], s[0:1], 0xa0                      // 000000002E58: C0060A00 000000A0
	s_load_dwordx2 s[46:47], s[0:1], 0xb0                      // 000000002E60: C0060B80 000000B0
	s_load_dword s64, s[0:1], 0xc0                             // 000000002E68: C0021000 000000C0
	s_load_dword s65, s[0:1], 0xd0                             // 000000002E70: C0021040 000000D0
	s_load_dword s66, s[0:1], 0xe0                             // 000000002E78: C0021080 000000E0
	s_load_dword s67, s[0:1], 0xf0                             // 000000002E80: C00210C0 000000F0
	s_load_dword s68, s[0:1], 0x100                            // 000000002E88: C0021100 00000100
	s_load_dword s69, s[0:1], 0x110                            // 000000002E90: C0021140 00000110
	s_load_dword s70, s[0:1], 0x120                            // 000000002E98: C0021180 00000120
	s_load_dword s71, s[0:1], 0x130                            // 000000002EA0: C00211C0 00000130
	s_load_dword s72, s[0:1], 0x140                            // 000000002EA8: C0021200 00000140
	s_load_dword s73, s[0:1], 0x150                            // 000000002EB0: C0021240 00000150
	s_load_dword s74, s[0:1], 0x160                            // 000000002EB8: C0021280 00000160
	s_load_dword s75, s[0:1], 0x170                            // 000000002EC0: C00212C0 00000170
	s_load_dword s76, s[0:1], 0x180                            // 000000002EC8: C0021300 00000180
	v_lshrrev_b32_e32 v1, 10, v0                               // 000000002ED0: 2002008A
	v_lshrrev_b32_e32 v2, 10, v1                               // 000000002ED4: 2004028A
	v_and_b32_e32 v2, 0x3ff, v2                                // 000000002ED8: 260404FF 000003FF
	v_and_b32_e32 v1, 0x3ff, v1                                // 000000002EE0: 260202FF 000003FF
	v_and_b32_e32 v0, 0x3ff, v0                                // 000000002EE8: 260000FF 000003FF
	v_lshrrev_b32_e32 v3, 6, v0                                // 000000002EF0: 20060086
	v_and_b32_e32 v0, 63, v0                                   // 000000002EF4: 260000BF
	s_mov_b32 s2, s2                                           // 000000002EF8: BE820002
	s_mov_b32 s3, s3                                           // 000000002EFC: BE830003
	s_mov_b32 s4, s4                                           // 000000002F00: BE840004
	v_readfirstlane_b32 s7, v3                                 // 000000002F04: 7E0E0503
	s_waitcnt lgkmcnt(0)                                       // 000000002F08: BF8CC07F
	s_and_b32 s51, s51, 0xffff                                 // 000000002F0C: 8633FF33 0000FFFF
	s_load_dword s50, s[50:51], 0x0                            // 000000002F14: C0020C99 00000000
	s_and_b32 s45, s45, 0xffff                                 // 000000002F1C: 862DFF2D 0000FFFF
	s_and_b32 s47, s47, 0xffff                                 // 000000002F24: 862FFF2F 0000FFFF
	s_and_b32 s9, s9, 0xffff                                   // 000000002F2C: 8609FF09 0000FFFF
	s_mul_i32 s60, s66, s68                                    // 000000002F34: 923C4442
	s_mul_i32 s61, s66, 4                                      // 000000002F38: 923D8442
	s_mov_b32 s22, s60                                         // 000000002F3C: BE96003C
	s_mov_b32 s26, -16                                         // 000000002F40: BE9A00D0
	s_mov_b32 s14, -16                                         // 000000002F44: BE8E00D0
	s_mov_b32 s42, -16                                         // 000000002F48: BEAA00D0
	s_mov_b32 s30, s61                                         // 000000002F4C: BE9E003D
	s_mov_b32 s34, 0x400                                       // 000000002F50: BEA200FF 00000400
	s_mov_b32 s38, 0x400                                       // 000000002F58: BEA600FF 00000400
	s_mov_b32 s18, -16                                         // 000000002F60: BE9200D0
	s_mov_b32 s23, 0x20000                                     // 000000002F64: BE9700FF 00020000
	s_mov_b32 s27, 0x20000                                     // 000000002F6C: BE9B00FF 00020000
	s_mov_b32 s15, 0x20000                                     // 000000002F74: BE8F00FF 00020000
	s_mov_b32 s43, 0x20000                                     // 000000002F7C: BEAB00FF 00020000
	s_mov_b32 s31, 0x20000                                     // 000000002F84: BE9F00FF 00020000
	s_mov_b32 s35, 0x20000                                     // 000000002F8C: BEA300FF 00020000
	s_mov_b32 s39, 0x20000                                     // 000000002F94: BEA700FF 00020000
	s_mov_b32 s19, 0x20000                                     // 000000002F9C: BE9300FF 00020000
	s_and_b32 s21, s21, 0xffff                                 // 000000002FA4: 8615FF15 0000FFFF
	s_and_b32 s25, s25, 0xffff                                 // 000000002FAC: 8619FF19 0000FFFF
	s_and_b32 s13, s13, 0xffff                                 // 000000002FB4: 860DFF0D 0000FFFF
	s_and_b32 s41, s41, 0xffff                                 // 000000002FBC: 8629FF29 0000FFFF
	s_and_b32 s29, s29, 0xffff                                 // 000000002FC4: 861DFF1D 0000FFFF
	s_and_b32 s33, s33, 0xffff                                 // 000000002FCC: 8621FF21 0000FFFF
	s_and_b32 s37, s37, 0xffff                                 // 000000002FD4: 8625FF25 0000FFFF
	s_and_b32 s17, s17, 0xffff                                 // 000000002FDC: 8611FF11 0000FFFF
	s_or_b32 s21, s21, 0x40000                                 // 000000002FE4: 8715FF15 00040000
	s_or_b32 s25, s25, 0x40000                                 // 000000002FEC: 8719FF19 00040000
	s_or_b32 s13, s13, 0x40000                                 // 000000002FF4: 870DFF0D 00040000
	s_or_b32 s41, s41, 0x40000                                 // 000000002FFC: 8729FF29 00040000
	s_or_b32 s29, s29, 0x40000                                 // 000000003004: 871DFF1D 00040000
	s_or_b32 s33, s33, 0x40000                                 // 00000000300C: 8721FF21 00040000
	s_or_b32 s37, s37, 0x40000                                 // 000000003014: 8725FF25 00040000
	s_or_b32 s17, s17, 0x40000                                 // 00000000301C: 8711FF11 00040000
	v_accvgpr_write_b32 a127, 0                                // 000000003024: D3D9407F 18000080
	v_mov_b32_e32 v223, 0                                      // 00000000302C: 7FBE0280
	s_waitcnt lgkmcnt(0)                                       // 000000003030: BF8CC07F
	s_mul_i32 s60, s3, 32                                      // 000000003034: 923CA003
	s_cmp_lt_i32 s60, s50                                      // 000000003038: BF04323C
	s_cbranch_scc0 label_1A47                                  // 00000000303C: BF8419B7
	s_mov_b32 s80, 0                                           // 000000003040: BED00080
	s_mov_b32 s81, s64                                         // 000000003044: BED10040
	s_mul_i32 s60, s3, 4                                       // 000000003048: 923C8403
	s_add_u32 s46, s60, s46                                    // 00000000304C: 802E2E3C
	s_addc_u32 s47, 0, s47                                     // 000000003050: 822F2F80
	s_load_dword s5, s[46:47], 0x0                             // 000000003054: C0020157 00000000
	s_mul_i32 s60, s3, 32                                      // 00000000305C: 923CA003
	s_mul_i32 s60, 4, s60                                      // 000000003060: 923C3C84
	v_and_b32_e32 v46, 15, v0                                  // 000000003064: 265C008F
	v_lshlrev_b32_e32 v46, 2, v46                              // 000000003068: 245C5C82
	v_add_u32_e32 v46, s60, v46                                // 00000000306C: 685C5C3C
	v_mov_b32_e32 v47, 0                                       // 000000003070: 7E5E0280
	global_load_dword v6, v46, s[44:45]                        // 000000003074: DC508000 062C002E
	v_add_u32_e32 v46, 64, v46                                 // 00000000307C: 685C5CC0
	global_load_dword v7, v46, s[44:45]                        // 000000003080: DC508000 072C002E
	s_mul_i32 s60, s3, 32                                      // 000000003088: 923CA003
	s_add_u32 s60, s7, s60                                     // 00000000308C: 803C3C07
	s_mul_i32 s60, 4, s60                                      // 000000003090: 923C3C84
	s_add_u32 s44, s60, s44                                    // 000000003094: 802C2C3C
	s_addc_u32 s45, 0, s45                                     // 000000003098: 822D2D80
	s_load_dword s82, s[44:45], 0x0                            // 00000000309C: C0021496 00000000
	s_load_dword s83, s[44:45], 0x10                           // 0000000030A4: C00214D6 00000010
	s_load_dword s84, s[44:45], 0x20                           // 0000000030AC: C0021516 00000020
	s_load_dword s85, s[44:45], 0x30                           // 0000000030B4: C0021556 00000030
	s_load_dword s86, s[44:45], 0x40                           // 0000000030BC: C0021596 00000040
	s_load_dword s87, s[44:45], 0x50                           // 0000000030C4: C00215D6 00000050
	s_load_dword s88, s[44:45], 0x60                           // 0000000030CC: C0021616 00000060
	s_load_dword s89, s[44:45], 0x70                           // 0000000030D4: C0021656 00000070
	s_waitcnt lgkmcnt(0)                                       // 0000000030DC: BF8CC07F
	v_lshlrev_b32_e32 v46, 2, v0                               // 0000000030E0: 245C0082
	s_and_b32 s82, s82, 0xffffff                               // 0000000030E4: 8652FF52 00FFFFFF
	s_mul_i32 s60, s82, s68                                    // 0000000030EC: 923C4452
	v_add_u32_e64 v24, v46, s60                                // 0000000030F0: D1340018 0000792E
	s_and_b32 s83, s83, 0xffffff                               // 0000000030F8: 8653FF53 00FFFFFF
	s_mul_i32 s60, s83, s68                                    // 000000003100: 923C4453
	v_add_u32_e64 v25, v46, s60                                // 000000003104: D1340019 0000792E
	s_and_b32 s84, s84, 0xffffff                               // 00000000310C: 8654FF54 00FFFFFF
	s_mul_i32 s60, s84, s68                                    // 000000003114: 923C4454
	v_add_u32_e64 v26, v46, s60                                // 000000003118: D134001A 0000792E
	s_and_b32 s85, s85, 0xffffff                               // 000000003120: 8655FF55 00FFFFFF
	s_mul_i32 s60, s85, s68                                    // 000000003128: 923C4455
	v_add_u32_e64 v27, v46, s60                                // 00000000312C: D134001B 0000792E
	s_and_b32 s86, s86, 0xffffff                               // 000000003134: 8656FF56 00FFFFFF
	s_mul_i32 s60, s86, s68                                    // 00000000313C: 923C4456
	v_add_u32_e64 v28, v46, s60                                // 000000003140: D134001C 0000792E
	s_and_b32 s87, s87, 0xffffff                               // 000000003148: 8657FF57 00FFFFFF
	s_mul_i32 s60, s87, s68                                    // 000000003150: 923C4457
	v_add_u32_e64 v29, v46, s60                                // 000000003154: D134001D 0000792E
	s_and_b32 s88, s88, 0xffffff                               // 00000000315C: 8658FF58 00FFFFFF
	s_mul_i32 s60, s88, s68                                    // 000000003164: 923C4458
	v_add_u32_e64 v30, v46, s60                                // 000000003168: D134001E 0000792E
	s_and_b32 s89, s89, 0xffffff                               // 000000003170: 8659FF59 00FFFFFF
	s_mul_i32 s60, s89, s68                                    // 000000003178: 923C4459
	v_add_u32_e64 v31, v46, s60                                // 00000000317C: D134001F 0000792E
	v_lshlrev_b32_e32 v46, 2, v0                               // 000000003184: 245C0082
	s_mul_i32 s60, s82, s71                                    // 000000003188: 923C4752
	v_add_u32_e64 v80, v46, s60                                // 00000000318C: D1340050 0000792E
	v_mov_b32_e32 v81, 0                                       // 000000003194: 7EA20280
	s_mul_i32 s60, s83, s71                                    // 000000003198: 923C4753
	v_add_u32_e64 v82, v46, s60                                // 00000000319C: D1340052 0000792E
	v_mov_b32_e32 v83, 0                                       // 0000000031A4: 7EA60280
	s_mul_i32 s60, s84, s71                                    // 0000000031A8: 923C4754
	v_add_u32_e64 v84, v46, s60                                // 0000000031AC: D1340054 0000792E
	v_mov_b32_e32 v85, 0                                       // 0000000031B4: 7EAA0280
	s_mul_i32 s60, s85, s71                                    // 0000000031B8: 923C4755
	v_add_u32_e64 v86, v46, s60                                // 0000000031BC: D1340056 0000792E
	v_mov_b32_e32 v87, 0                                       // 0000000031C4: 7EAE0280
	s_mul_i32 s60, s86, s71                                    // 0000000031C8: 923C4756
	v_add_u32_e64 v88, v46, s60                                // 0000000031CC: D1340058 0000792E
	v_mov_b32_e32 v89, 0                                       // 0000000031D4: 7EB20280
	s_mul_i32 s60, s87, s71                                    // 0000000031D8: 923C4757
	v_add_u32_e64 v90, v46, s60                                // 0000000031DC: D134005A 0000792E
	v_mov_b32_e32 v91, 0                                       // 0000000031E4: 7EB60280
	s_mul_i32 s60, s88, s71                                    // 0000000031E8: 923C4758
	v_add_u32_e64 v92, v46, s60                                // 0000000031EC: D134005C 0000792E
	v_mov_b32_e32 v93, 0                                       // 0000000031F4: 7EBA0280
	s_mul_i32 s60, s89, s71                                    // 0000000031F8: 923C4759
	v_add_u32_e64 v94, v46, s60                                // 0000000031FC: D134005E 0000792E
	v_mov_b32_e32 v95, 0                                       // 000000003204: 7EBE0280
	s_mul_i32 s60, s7, 0x820                                   // 000000003208: 923CFF07 00000820
	s_add_u32 s50, 0, s60                                      // 000000003210: 80323C80
	s_add_u32 s51, 0x2080, s50                                 // 000000003214: 803332FF 00002080
	v_lshrrev_b32_e32 v46, 4, v0                               // 00000000321C: 205C0084
	v_lshlrev_b32_e32 v47, 2, v46                              // 000000003220: 245E5C82
	v_and_b32_e32 v46, 15, v0                                  // 000000003224: 265C008F
	v_lshrrev_b32_e32 v48, 2, v46                              // 000000003228: 20605C82
	v_lshlrev_b32_e32 v48, 6, v48                              // 00000000322C: 24606086
	v_add_u32_e32 v47, v48, v47                                // 000000003230: 685E5F30
	v_and_b32_e32 v46, 3, v0                                   // 000000003234: 265C0083
	v_mul_i32_i24_e32 v48, 0x208, v46                          // 000000003238: 0C605CFF 00000208
	v_add_u32_e32 v47, v48, v47                                // 000000003240: 685E5F30
	v_lshlrev_b32_e32 v2, 2, v47                               // 000000003244: 24045E82
	s_mul_i32 s60, s2, 0x100                                   // 000000003248: 923CFF02 00000100
	s_mul_i32 s60, s60, s69                                    // 000000003250: 923C453C
	s_mul_i32 s61, s5, s72                                     // 000000003254: 923D4805
	s_add_u32 s60, s61, s60                                    // 000000003258: 803C3C3D
	s_add_u32 s24, s60, s24                                    // 00000000325C: 8018183C
	s_addc_u32 s25, 0, s25                                     // 000000003260: 82191980
	s_mul_i32 s60, s7, 16                                      // 000000003264: 923C9007
	s_mul_i32 s60, s60, s69                                    // 000000003268: 923C453C
	v_lshlrev_b32_e32 v32, 4, v0                               // 00000000326C: 24400084
	v_add_u32_e32 v32, s60, v32                                // 000000003270: 6840403C
	s_mul_i32 s60, 64, s69                                     // 000000003274: 923C45C0
	v_add_u32_e32 v33, s60, v32                                // 000000003278: 6842403C
	v_add_u32_e32 v34, s60, v33                                // 00000000327C: 6844423C
	v_add_u32_e32 v35, s60, v34                                // 000000003280: 6846443C
	s_mov_b32 s92, s24                                         // 000000003284: BEDC0018
	s_mov_b32 s93, s25                                         // 000000003288: BEDD0019
	s_mov_b32 s94, s26                                         // 00000000328C: BEDE001A
	s_mov_b32 s95, s27                                         // 000000003290: BEDF001B
	s_mul_i32 s60, s69, s65                                    // 000000003294: 923C4145
	s_add_u32 s92, s60, s92                                    // 000000003298: 805C5C3C
	s_addc_u32 s93, 0, s93                                     // 00000000329C: 825D5D80
	s_mul_i32 s60, s2, 0x1000                                  // 0000000032A0: 923CFF02 00001000
	s_mul_i32 s61, s5, s73                                     // 0000000032A8: 923D4905
	s_add_u32 s60, s61, s60                                    // 0000000032AC: 803C3C3D
	s_add_u32 s12, s60, s12                                    // 0000000032B0: 800C0C3C
	s_addc_u32 s13, 0, s13                                     // 0000000032B4: 820D0D80
	s_mul_i32 s60, s7, 16                                      // 0000000032B8: 923C9007
	s_mul_i32 s60, s60, s70                                    // 0000000032BC: 923C463C
	v_lshlrev_b32_e32 v36, 4, v0                               // 0000000032C0: 24480084
	v_add_u32_e32 v36, s60, v36                                // 0000000032C4: 6848483C
	s_mul_i32 s60, 64, s70                                     // 0000000032C8: 923C46C0
	v_add_u32_e32 v37, s60, v36                                // 0000000032CC: 684A483C
	v_add_u32_e32 v38, s60, v37                                // 0000000032D0: 684C4A3C
	v_add_u32_e32 v39, s60, v38                                // 0000000032D4: 684E4C3C
	s_mul_i32 s60, s70, 0x100                                  // 0000000032D8: 923CFF46 00000100
	s_mov_b32 s78, 0x400                                       // 0000000032E0: BECE00FF 00000400
	s_mul_i32 s61, s78, 3                                      // 0000000032E8: 923D834E
	s_sub_u32 s56, s60, s61                                    // 0000000032EC: 80B83D3C
	s_mul_i32 s60, s3, 32                                      // 0000000032F0: 923CA003
	s_mul_i32 s60, 4, s60                                      // 0000000032F4: 923C3C84
	s_add_u32 s40, s60, s40                                    // 0000000032F8: 8028283C
	s_addc_u32 s41, 0, s41                                     // 0000000032FC: 82292980
	v_and_b32_e32 v46, 15, v0                                  // 000000003300: 265C008F
	v_lshlrev_b32_e32 v8, 2, v46                               // 000000003304: 24105C82
	v_add_u32_e32 v9, 64, v8                                   // 000000003308: 681210C0
	v_lshrrev_b32_e32 v46, 4, v0                               // 00000000330C: 205C0084
	v_lshlrev_b32_e32 v47, 2, v46                              // 000000003310: 245E5C82
	v_and_b32_e32 v46, 15, v0                                  // 000000003314: 265C008F
	v_lshrrev_b32_e32 v48, 2, v46                              // 000000003318: 20605C82
	v_lshlrev_b32_e32 v48, 6, v48                              // 00000000331C: 24606086
	v_add_u32_e32 v47, v48, v47                                // 000000003320: 685E5F30
	v_and_b32_e32 v46, 3, v0                                   // 000000003324: 265C0083
	v_add_u32_e32 v47, v46, v47                                // 000000003328: 685E5F2E
	v_lshlrev_b32_e32 v10, 2, v47                              // 00000000332C: 24145E82
	v_add_u32_e32 v11, 0x400, v10                              // 000000003330: 681614FF 00000400
	s_mul_i32 s60, s7, 16                                      // 000000003338: 923C9007
	s_mul_i32 s60, s60, 4                                      // 00000000333C: 923C843C
	v_add_u32_e32 v10, s60, v10                                // 000000003340: 6814143C
	v_add_u32_e32 v11, s60, v11                                // 000000003344: 6816163C
	v_mov_b32_e32 v5, v10                                      // 000000003348: 7E0A030A
	s_mul_i32 s60, s2, 0x100                                   // 00000000334C: 923CFF02 00000100
	s_mul_i32 s60, s60, 4                                      // 000000003354: 923C843C
	s_mul_i32 s61, s5, s74                                     // 000000003358: 923D4A05
	s_add_u32 s61, s61, s60                                    // 00000000335C: 803D3C3D
	s_mul_i32 s62, s5, s76                                     // 000000003360: 923E4C05
	s_add_u32 s62, s62, s60                                    // 000000003364: 803E3C3E
	s_add_u32 s32, s61, s32                                    // 000000003368: 8020203D
	s_addc_u32 s33, 0, s33                                     // 00000000336C: 82212180
	s_add_u32 s36, s62, s36                                    // 000000003370: 8024243E
	s_addc_u32 s37, 0, s37                                     // 000000003374: 82252580
	s_mul_i32 s60, s5, s75                                     // 000000003378: 923C4B05
	s_add_u32 s16, s60, s16                                    // 00000000337C: 8010103C
	s_addc_u32 s17, 0, s17                                     // 000000003380: 82111180
	s_mov_b32 s57, 0x100                                       // 000000003384: BEB900FF 00000100
	s_mov_b32 s58, 0x1000                                      // 00000000338C: BEBA00FF 00001000
	s_mov_b32 s79, 0x400                                       // 000000003394: BECF00FF 00000400
	s_mov_b32 s59, 0x200                                       // 00000000339C: BEBB00FF 00000200
	s_mov_b32 s90, s58                                         // 0000000033A4: BEDA003A
	s_mov_b32 s52, 0x7060302                                   // 0000000033A8: BEB400FF 07060302
	s_mov_b32 s53, 0x400                                       // 0000000033B0: BEB500FF 00000400
	s_mov_b32 s54, 0x40100                                     // 0000000033B8: BEB600FF 00040100
	s_mov_b32 s55, 0x4020100                                   // 0000000033C0: BEB700FF 04020100
	s_mov_b32 s6, 0x3fb8aa3b                                   // 0000000033C8: BE8600FF 3FB8AA3B
	s_mov_b32 s77, 0xbd92220c                                  // 0000000033D0: BECD00FF BD92220C
	s_mov_b32 m0, s50                                          // 0000000033D8: BEFC0032
	v_mov_b32_e32 v1, 0xbfcc4231                               // 0000000033DC: 7E0202FF BFCC4231
	v_mov_b32_e32 v41, 0xffff0000                              // 0000000033E4: 7E5202FF FFFF0000
	v_mov_b32_e32 v42, 0x7fff0000                              // 0000000033EC: 7E5402FF 7FFF0000
	v_mov_b32_e32 v43, 0x7fff                                  // 0000000033F4: 7E5602FF 00007FFF
	s_waitcnt vmcnt(0) expcnt(0) lgkmcnt(0)                    // 0000000033FC: BF8C0000
	v_and_b32_e32 v6, 0xffffff, v6                             // 000000003400: 260C0CFF 00FFFFFF
	v_and_b32_e32 v7, 0xffffff, v7                             // 000000003408: 260E0EFF 00FFFFFF
	v_lshlrev_b32_e32 v6, 2, v6                                // 000000003410: 240C0C82
	v_lshlrev_b32_e32 v7, 2, v7                                // 000000003414: 240E0E82
	buffer_load_dword v13, v6, s[28:31], 0 offen               // 000000003418: E0501000 80070D06
	buffer_load_dword v14, v7, s[28:31], 0 offen               // 000000003420: E0501000 80070E07
	buffer_load_dword v15, v10, s[32:35], 0 offen              // 000000003428: E0501000 80080F0A
	buffer_load_dword v16, v11, s[32:35], 0 offen              // 000000003430: E0501000 8008100B
	s_mul_i32 s60, 4, s65                                      // 000000003438: 923C4184
	s_add_u32 s32, s60, s32                                    // 00000000343C: 8020203C
	s_addc_u32 s33, 0, s33                                     // 000000003440: 82212180
	buffer_load_dword v44, v10, s[32:35], 0 offen              // 000000003444: E0501000 80082C0A
	buffer_load_dword v45, v11, s[32:35], 0 offen              // 00000000344C: E0501000 80082D0B
	buffer_load_dword v17, v8, s[40:43], 0 offen               // 000000003454: E0501000 800A1108
	buffer_load_dword v18, v9, s[40:43], 0 offen               // 00000000345C: E0501000 800A1209
	buffer_load_dword v24, s[20:23], 0 offen lds               // 000000003464: E0511000 80050018
	s_add_u32 m0, 0x100, s50                                   // 00000000346C: 807C32FF 00000100
	buffer_load_dword v25, s[20:23], 0 offen lds               // 000000003474: E0511000 80050019
	s_add_u32 m0, 0x200, s50                                   // 00000000347C: 807C32FF 00000200
	buffer_load_dword v26, s[20:23], 0 offen lds               // 000000003484: E0511000 8005001A
	s_add_u32 m0, 0x300, s50                                   // 00000000348C: 807C32FF 00000300
	buffer_load_dword v27, s[20:23], 0 offen lds               // 000000003494: E0511000 8005001B
	s_add_u32 m0, 0x400, s50                                   // 00000000349C: 807C32FF 00000400
	buffer_load_dword v28, s[20:23], 0 offen lds               // 0000000034A4: E0511000 8005001C
	s_add_u32 m0, 0x500, s50                                   // 0000000034AC: 807C32FF 00000500
	buffer_load_dword v29, s[20:23], 0 offen lds               // 0000000034B4: E0511000 8005001D
	s_add_u32 m0, 0x600, s50                                   // 0000000034BC: 807C32FF 00000600
	buffer_load_dword v30, s[20:23], 0 offen lds               // 0000000034C4: E0511000 8005001E
	s_add_u32 m0, 0x700, s50                                   // 0000000034CC: 807C32FF 00000700
	buffer_load_dword v31, s[20:23], 0 offen lds               // 0000000034D4: E0511000 8005001F
	s_add_u32 m0, 0, s51                                       // 0000000034DC: 807C3380
	s_add_u32 s20, s57, s20                                    // 0000000034E0: 80141439
	s_addc_u32 s21, 0, s21                                     // 0000000034E4: 82151580
	buffer_load_dwordx4 a[0:3], v32, s[24:27], 0 offen         // 0000000034E8: E05C1000 80860020
	buffer_load_dwordx4 a[4:7], v32, s[24:27], 0 offen offset:1024// 0000000034F0: E05C1400 80860420
	buffer_load_dwordx4 a[8:11], v32, s[24:27], 0 offen offset:2048// 0000000034F8: E05C1800 80860820
	buffer_load_dwordx4 a[12:15], v32, s[24:27], 0 offen offset:3072// 000000003500: E05C1C00 80860C20
	buffer_load_dwordx4 a[16:19], v33, s[24:27], 0 offen       // 000000003508: E05C1000 80861021
	buffer_load_dwordx4 a[20:23], v33, s[24:27], 0 offen offset:1024// 000000003510: E05C1400 80861421
	buffer_load_dwordx4 a[24:27], v33, s[24:27], 0 offen offset:2048// 000000003518: E05C1800 80861821
	buffer_load_dwordx4 a[28:31], v33, s[24:27], 0 offen offset:3072// 000000003520: E05C1C00 80861C21
	buffer_load_dwordx4 a[32:35], v34, s[24:27], 0 offen       // 000000003528: E05C1000 80862022
	buffer_load_dwordx4 a[36:39], v34, s[24:27], 0 offen offset:1024// 000000003530: E05C1400 80862422
	buffer_load_dwordx4 a[40:43], v34, s[24:27], 0 offen offset:2048// 000000003538: E05C1800 80862822
	buffer_load_dwordx4 a[44:47], v34, s[24:27], 0 offen offset:3072// 000000003540: E05C1C00 80862C22
	buffer_load_dwordx4 a[48:51], v35, s[24:27], 0 offen       // 000000003548: E05C1000 80863023
	buffer_load_dwordx4 a[52:55], v35, s[24:27], 0 offen offset:1024// 000000003550: E05C1400 80863423
	buffer_load_dwordx4 a[56:59], v35, s[24:27], 0 offen offset:2048// 000000003558: E05C1800 80863823
	buffer_load_dwordx4 a[60:63], v35, s[24:27], 0 offen offset:3072// 000000003560: E05C1C00 80863C23
	s_add_u32 s24, s58, s24                                    // 000000003568: 8018183A
	s_addc_u32 s25, 0, s25                                     // 00000000356C: 82191980
	v_mov_b32_e32 v128, 0                                      // 000000003570: 7F000280
	v_mov_b32_e32 v64, 0                                       // 000000003574: 7E800280
	v_mov_b32_e32 v129, 0                                      // 000000003578: 7F020280
	v_mov_b32_e32 v65, 0                                       // 00000000357C: 7E820280
	v_mov_b32_e32 v130, 0                                      // 000000003580: 7F040280
	v_mov_b32_e32 v66, 0                                       // 000000003584: 7E840280
	v_mov_b32_e32 v131, 0                                      // 000000003588: 7F060280
	v_mov_b32_e32 v67, 0                                       // 00000000358C: 7E860280
	v_mov_b32_e32 v132, 0                                      // 000000003590: 7F080280
	v_mov_b32_e32 v68, 0                                       // 000000003594: 7E880280
	v_mov_b32_e32 v133, 0                                      // 000000003598: 7F0A0280
	v_mov_b32_e32 v69, 0                                       // 00000000359C: 7E8A0280
	v_mov_b32_e32 v134, 0                                      // 0000000035A0: 7F0C0280
	v_mov_b32_e32 v70, 0                                       // 0000000035A4: 7E8C0280
	v_mov_b32_e32 v135, 0                                      // 0000000035A8: 7F0E0280
	v_mov_b32_e32 v71, 0                                       // 0000000035AC: 7E8E0280
	v_mov_b32_e32 v136, 0                                      // 0000000035B0: 7F100280
	v_mov_b32_e32 v72, 0                                       // 0000000035B4: 7E900280
	v_mov_b32_e32 v137, 0                                      // 0000000035B8: 7F120280
	v_mov_b32_e32 v73, 0                                       // 0000000035BC: 7E920280
	v_mov_b32_e32 v138, 0                                      // 0000000035C0: 7F140280
	v_mov_b32_e32 v74, 0                                       // 0000000035C4: 7E940280
	v_mov_b32_e32 v139, 0                                      // 0000000035C8: 7F160280
	v_mov_b32_e32 v75, 0                                       // 0000000035CC: 7E960280
	v_mov_b32_e32 v140, 0                                      // 0000000035D0: 7F180280
	v_mov_b32_e32 v76, 0                                       // 0000000035D4: 7E980280
	v_mov_b32_e32 v141, 0                                      // 0000000035D8: 7F1A0280
	v_mov_b32_e32 v77, 0                                       // 0000000035DC: 7E9A0280
	v_mov_b32_e32 v142, 0                                      // 0000000035E0: 7F1C0280
	v_mov_b32_e32 v78, 0                                       // 0000000035E4: 7E9C0280
	v_mov_b32_e32 v143, 0                                      // 0000000035E8: 7F1E0280
	v_mov_b32_e32 v79, 0                                       // 0000000035EC: 7E9E0280
	v_mov_b32_e32 v144, 0                                      // 0000000035F0: 7F200280
	v_mov_b32_e32 v80, 0                                       // 0000000035F4: 7EA00280
	v_mov_b32_e32 v145, 0                                      // 0000000035F8: 7F220280
	v_mov_b32_e32 v81, 0                                       // 0000000035FC: 7EA20280
	v_mov_b32_e32 v146, 0                                      // 000000003600: 7F240280
	v_mov_b32_e32 v82, 0                                       // 000000003604: 7EA40280
	v_mov_b32_e32 v147, 0                                      // 000000003608: 7F260280
	v_mov_b32_e32 v83, 0                                       // 00000000360C: 7EA60280
	v_mov_b32_e32 v148, 0                                      // 000000003610: 7F280280
	v_mov_b32_e32 v84, 0                                       // 000000003614: 7EA80280
	v_mov_b32_e32 v149, 0                                      // 000000003618: 7F2A0280
	v_mov_b32_e32 v85, 0                                       // 00000000361C: 7EAA0280
	v_mov_b32_e32 v150, 0                                      // 000000003620: 7F2C0280
	v_mov_b32_e32 v86, 0                                       // 000000003624: 7EAC0280
	v_mov_b32_e32 v151, 0                                      // 000000003628: 7F2E0280
	v_mov_b32_e32 v87, 0                                       // 00000000362C: 7EAE0280
	v_mov_b32_e32 v152, 0                                      // 000000003630: 7F300280
	v_mov_b32_e32 v88, 0                                       // 000000003634: 7EB00280
	v_mov_b32_e32 v153, 0                                      // 000000003638: 7F320280
	v_mov_b32_e32 v89, 0                                       // 00000000363C: 7EB20280
	v_mov_b32_e32 v154, 0                                      // 000000003640: 7F340280
	v_mov_b32_e32 v90, 0                                       // 000000003644: 7EB40280
	v_mov_b32_e32 v155, 0                                      // 000000003648: 7F360280
	v_mov_b32_e32 v91, 0                                       // 00000000364C: 7EB60280
	v_mov_b32_e32 v156, 0                                      // 000000003650: 7F380280
	v_mov_b32_e32 v92, 0                                       // 000000003654: 7EB80280
	v_mov_b32_e32 v157, 0                                      // 000000003658: 7F3A0280
	v_mov_b32_e32 v93, 0                                       // 00000000365C: 7EBA0280
	v_mov_b32_e32 v158, 0                                      // 000000003660: 7F3C0280
	v_mov_b32_e32 v94, 0                                       // 000000003664: 7EBC0280
	v_mov_b32_e32 v159, 0                                      // 000000003668: 7F3E0280
	v_mov_b32_e32 v95, 0                                       // 00000000366C: 7EBE0280
	v_lshrrev_b32_e32 v46, 4, v0                               // 000000003670: 205C0084
	v_mul_i32_i24_e32 v3, 34, v46                              // 000000003674: 0C065CA2
	v_and_b32_e32 v46, 15, v0                                  // 000000003678: 265C008F
	v_mul_i32_i24_e32 v47, 2, v46                              // 00000000367C: 0C5E5C82
	v_add_u32_e32 v3, v47, v3                                  // 000000003680: 6806072F
	s_mul_i32 s60, s7, 0x88                                    // 000000003684: 923CFF07 00000088
	v_add_u32_e32 v3, s60, v3                                  // 00000000368C: 6806063C
	v_lshlrev_b32_e32 v3, 2, v3                                // 000000003690: 24060682
	v_lshrrev_b32_e32 v46, 1, v0                               // 000000003694: 205C0081
	v_mul_i32_i24_e32 v4, 34, v46                              // 000000003698: 0C085CA2
	v_and_b32_e32 v47, 1, v0                                   // 00000000369C: 265E0081
	v_add_u32_e32 v4, v47, v4                                  // 0000000036A0: 6808092F
	s_mul_i32 s60, s7, 2                                       // 0000000036A4: 923C8207
	v_add_u32_e32 v4, s60, v4                                  // 0000000036A8: 6808083C
	v_lshlrev_b32_e32 v4, 2, v4                                // 0000000036AC: 24080882
	s_waitcnt vmcnt(16)                                        // 0000000036B0: BF8C4F70
	s_barrier                                                  // 0000000036B4: BF8A0000
	ds_read_b128 v[160:163], v2                                // 0000000036B8: D9FE0000 A0000002
	ds_read_b128 v[164:167], v2 offset:64                      // 0000000036C0: D9FE0040 A4000002
	ds_read_b128 v[168:171], v2 offset:128                     // 0000000036C8: D9FE0080 A8000002
	ds_read_b128 v[172:175], v2 offset:192                     // 0000000036D0: D9FE00C0 AC000002
	ds_read_b128 v[176:179], v2 offset:1024                    // 0000000036D8: D9FE0400 B0000002
	ds_read_b128 v[180:183], v2 offset:1088                    // 0000000036E0: D9FE0440 B4000002
	ds_read_b128 v[184:187], v2 offset:1152                    // 0000000036E8: D9FE0480 B8000002
	ds_read_b128 v[188:191], v2 offset:1216                    // 0000000036F0: D9FE04C0 BC000002
	s_cmp_lt_i32 s7, 2                                         // 0000000036F8: BF048207
	s_cbranch_scc0 label_0E45                                  // 0000000036FC: BF840C05

0000000000003700 <label_0240>:
	s_waitcnt vmcnt(8) lgkmcnt(0)                              // 000000003700: BF8C0078
	s_barrier                                                  // 000000003704: BF8A0000
	v_mfma_i32_16x16x32_i8 v[128:131], a[0:1], v[160:161], v[128:131]// 000000003708: D3D70080 0E034100
	v_mfma_i32_16x16x32_i8 v[128:131], a[2:3], v[162:163], v[128:131]// 000000003710: D3D70080 0E034502
	buffer_load_dwordx4 a[64:67], v32, s[92:95], 0 offen       // 000000003718: E05C1000 80974020
	v_mfma_i32_16x16x32_i8 v[128:131], a[4:5], v[164:165], v[128:131]// 000000003720: D3D70080 0E034904
	v_mfma_i32_16x16x32_i8 v[128:131], a[6:7], v[166:167], v[128:131]// 000000003728: D3D70080 0E034D06
	buffer_load_dword v24, s[20:23], 0 offen lds               // 000000003730: E0511000 80050018
	s_add_u32 m0, 0x100, s51                                   // 000000003738: 807C33FF 00000100
	v_mfma_i32_16x16x32_i8 v[128:131], a[8:9], v[168:169], v[128:131]// 000000003740: D3D70080 0E035108
	v_mfma_i32_16x16x32_i8 v[128:131], a[10:11], v[170:171], v[128:131]// 000000003748: D3D70080 0E03550A
	buffer_load_dwordx4 a[68:71], v32, s[92:95], 0 offen offset:1024// 000000003750: E05C1400 80974420
	v_mfma_i32_16x16x32_i8 v[128:131], a[12:13], v[172:173], v[128:131]// 000000003758: D3D70080 0E03590C
	v_mfma_i32_16x16x32_i8 v[128:131], a[14:15], v[174:175], v[128:131]// 000000003760: D3D70080 0E035D0E
	buffer_load_dword v25, s[20:23], 0 offen lds               // 000000003768: E0511000 80050019
	s_add_u32 m0, 0x200, s51                                   // 000000003770: 807C33FF 00000200
	v_mfma_i32_16x16x32_i8 v[132:135], a[0:1], v[176:177], v[132:135]// 000000003778: D3D70084 0E136100
	v_mfma_i32_16x16x32_i8 v[132:135], a[2:3], v[178:179], v[132:135]// 000000003780: D3D70084 0E136502
	buffer_load_dwordx4 a[72:75], v32, s[92:95], 0 offen offset:2048// 000000003788: E05C1800 80974820
	v_mfma_i32_16x16x32_i8 v[132:135], a[4:5], v[180:181], v[132:135]// 000000003790: D3D70084 0E136904
	v_mfma_i32_16x16x32_i8 v[132:135], a[6:7], v[182:183], v[132:135]// 000000003798: D3D70084 0E136D06
	buffer_load_dword v26, s[20:23], 0 offen lds               // 0000000037A0: E0511000 8005001A
	s_add_u32 m0, 0x300, s51                                   // 0000000037A8: 807C33FF 00000300
	v_mfma_i32_16x16x32_i8 v[132:135], a[8:9], v[184:185], v[132:135]// 0000000037B0: D3D70084 0E137108
	v_mfma_i32_16x16x32_i8 v[132:135], a[10:11], v[186:187], v[132:135]// 0000000037B8: D3D70084 0E13750A
	buffer_load_dwordx4 a[76:79], v32, s[92:95], 0 offen offset:3072// 0000000037C0: E05C1C00 80974C20
	v_mfma_i32_16x16x32_i8 v[132:135], a[12:13], v[188:189], v[132:135]// 0000000037C8: D3D70084 0E13790C
	v_mfma_i32_16x16x32_i8 v[132:135], a[14:15], v[190:191], v[132:135]// 0000000037D0: D3D70084 0E137D0E
	buffer_load_dword v27, s[20:23], 0 offen lds               // 0000000037D8: E0511000 8005001B
	s_add_u32 m0, 0x400, s51                                   // 0000000037E0: 807C33FF 00000400
	v_mfma_i32_16x16x32_i8 v[136:139], a[16:17], v[160:161], v[136:139]// 0000000037E8: D3D70088 0E234110
	v_mfma_i32_16x16x32_i8 v[136:139], a[18:19], v[162:163], v[136:139]// 0000000037F0: D3D70088 0E234512
	buffer_load_dwordx4 a[80:83], v33, s[92:95], 0 offen       // 0000000037F8: E05C1000 80975021
	v_mfma_i32_16x16x32_i8 v[136:139], a[20:21], v[164:165], v[136:139]// 000000003800: D3D70088 0E234914
	v_mfma_i32_16x16x32_i8 v[136:139], a[22:23], v[166:167], v[136:139]// 000000003808: D3D70088 0E234D16
	buffer_load_dword v28, s[20:23], 0 offen lds               // 000000003810: E0511000 8005001C
	s_add_u32 m0, 0x500, s51                                   // 000000003818: 807C33FF 00000500
	v_mfma_i32_16x16x32_i8 v[136:139], a[24:25], v[168:169], v[136:139]// 000000003820: D3D70088 0E235118
	v_mfma_i32_16x16x32_i8 v[136:139], a[26:27], v[170:171], v[136:139]// 000000003828: D3D70088 0E23551A
	buffer_load_dwordx4 a[84:87], v33, s[92:95], 0 offen offset:1024// 000000003830: E05C1400 80975421
	v_mfma_i32_16x16x32_i8 v[136:139], a[28:29], v[172:173], v[136:139]// 000000003838: D3D70088 0E23591C
	v_mfma_i32_16x16x32_i8 v[136:139], a[30:31], v[174:175], v[136:139]// 000000003840: D3D70088 0E235D1E
	buffer_load_dword v29, s[20:23], 0 offen lds               // 000000003848: E0511000 8005001D
	s_add_u32 m0, 0x600, s51                                   // 000000003850: 807C33FF 00000600
	v_mfma_i32_16x16x32_i8 v[140:143], a[16:17], v[176:177], v[140:143]// 000000003858: D3D7008C 0E336110
	v_mfma_i32_16x16x32_i8 v[140:143], a[18:19], v[178:179], v[140:143]// 000000003860: D3D7008C 0E336512
	buffer_load_dwordx4 a[88:91], v33, s[92:95], 0 offen offset:2048// 000000003868: E05C1800 80975821
	v_mfma_i32_16x16x32_i8 v[140:143], a[20:21], v[180:181], v[140:143]// 000000003870: D3D7008C 0E336914
	v_mfma_i32_16x16x32_i8 v[140:143], a[22:23], v[182:183], v[140:143]// 000000003878: D3D7008C 0E336D16
	buffer_load_dword v30, s[20:23], 0 offen lds               // 000000003880: E0511000 8005001E
	s_add_u32 m0, 0x700, s51                                   // 000000003888: 807C33FF 00000700
	v_mfma_i32_16x16x32_i8 v[140:143], a[24:25], v[184:185], v[140:143]// 000000003890: D3D7008C 0E337118
	v_mfma_i32_16x16x32_i8 v[140:143], a[26:27], v[186:187], v[140:143]// 000000003898: D3D7008C 0E33751A
	buffer_load_dwordx4 a[92:95], v33, s[92:95], 0 offen offset:3072// 0000000038A0: E05C1C00 80975C21
	v_mfma_i32_16x16x32_i8 v[140:143], a[28:29], v[188:189], v[140:143]// 0000000038A8: D3D7008C 0E33791C
	v_mfma_i32_16x16x32_i8 v[140:143], a[30:31], v[190:191], v[140:143]// 0000000038B0: D3D7008C 0E337D1E
	buffer_load_dword v31, s[20:23], 0 offen lds               // 0000000038B8: E0511000 8005001F
	s_add_u32 m0, 0, s50                                       // 0000000038C0: 807C3280
	s_waitcnt vmcnt(20)                                        // 0000000038C4: BF8C4F74
	v_mfma_i32_16x16x32_i8 v[144:147], a[32:33], v[160:161], v[144:147]// 0000000038C8: D3D70090 0E434120
	v_mfma_i32_16x16x32_i8 v[144:147], a[34:35], v[162:163], v[144:147]// 0000000038D0: D3D70090 0E434522
	buffer_load_dwordx4 a[96:99], v34, s[92:95], 0 offen       // 0000000038D8: E05C1000 80976022
	v_mfma_i32_16x16x32_i8 v[144:147], a[36:37], v[164:165], v[144:147]// 0000000038E0: D3D70090 0E434924
	v_mfma_i32_16x16x32_i8 v[144:147], a[38:39], v[166:167], v[144:147]// 0000000038E8: D3D70090 0E434D26
	v_mfma_i32_16x16x32_i8 v[144:147], a[40:41], v[168:169], v[144:147]// 0000000038F0: D3D70090 0E435128
	v_mfma_i32_16x16x32_i8 v[144:147], a[42:43], v[170:171], v[144:147]// 0000000038F8: D3D70090 0E43552A
	buffer_load_dwordx4 a[100:103], v34, s[92:95], 0 offen offset:1024// 000000003900: E05C1400 80976422
	v_mfma_i32_16x16x32_i8 v[144:147], a[44:45], v[172:173], v[144:147]// 000000003908: D3D70090 0E43592C
	v_mfma_i32_16x16x32_i8 v[144:147], a[46:47], v[174:175], v[144:147]// 000000003910: D3D70090 0E435D2E
	v_mfma_i32_16x16x32_i8 v[148:151], a[32:33], v[176:177], v[148:151]// 000000003918: D3D70094 0E536120
	v_mfma_i32_16x16x32_i8 v[148:151], a[34:35], v[178:179], v[148:151]// 000000003920: D3D70094 0E536522
	buffer_load_dwordx4 a[104:107], v34, s[92:95], 0 offen offset:2048// 000000003928: E05C1800 80976822
	v_mfma_i32_16x16x32_i8 v[148:151], a[36:37], v[180:181], v[148:151]// 000000003930: D3D70094 0E536924
	v_mfma_i32_16x16x32_i8 v[148:151], a[38:39], v[182:183], v[148:151]// 000000003938: D3D70094 0E536D26
	v_mfma_i32_16x16x32_i8 v[148:151], a[40:41], v[184:185], v[148:151]// 000000003940: D3D70094 0E537128
	v_mfma_i32_16x16x32_i8 v[148:151], a[42:43], v[186:187], v[148:151]// 000000003948: D3D70094 0E53752A
	buffer_load_dwordx4 a[108:111], v34, s[92:95], 0 offen offset:3072// 000000003950: E05C1C00 80976C22
	v_mfma_i32_16x16x32_i8 v[148:151], a[44:45], v[188:189], v[148:151]// 000000003958: D3D70094 0E53792C
	v_mfma_i32_16x16x32_i8 v[148:151], a[46:47], v[190:191], v[148:151]// 000000003960: D3D70094 0E537D2E
	s_waitcnt vmcnt(20)                                        // 000000003968: BF8C4F74
	v_mfma_i32_16x16x32_i8 v[152:155], a[48:49], v[160:161], v[152:155]// 00000000396C: D3D70098 0E634130
	v_mfma_i32_16x16x32_i8 v[152:155], a[50:51], v[162:163], v[152:155]// 000000003974: D3D70098 0E634532
	buffer_load_dwordx4 a[112:115], v35, s[92:95], 0 offen     // 00000000397C: E05C1000 80977023
	v_mfma_i32_16x16x32_i8 v[152:155], a[52:53], v[164:165], v[152:155]// 000000003984: D3D70098 0E634934
	v_mfma_i32_16x16x32_i8 v[152:155], a[54:55], v[166:167], v[152:155]// 00000000398C: D3D70098 0E634D36
	v_mfma_i32_16x16x32_i8 v[152:155], a[56:57], v[168:169], v[152:155]// 000000003994: D3D70098 0E635138
	v_mfma_i32_16x16x32_i8 v[152:155], a[58:59], v[170:171], v[152:155]// 00000000399C: D3D70098 0E63553A
	buffer_load_dwordx4 a[116:119], v35, s[92:95], 0 offen offset:1024// 0000000039A4: E05C1400 80977423
	v_mfma_i32_16x16x32_i8 v[152:155], a[60:61], v[172:173], v[152:155]// 0000000039AC: D3D70098 0E63593C
	v_mfma_i32_16x16x32_i8 v[152:155], a[62:63], v[174:175], v[152:155]// 0000000039B4: D3D70098 0E635D3E
	v_mfma_i32_16x16x32_i8 v[156:159], a[48:49], v[176:177], v[156:159]// 0000000039BC: D3D7009C 0E736130
	v_mfma_i32_16x16x32_i8 v[156:159], a[50:51], v[178:179], v[156:159]// 0000000039C4: D3D7009C 0E736532
	buffer_load_dwordx4 a[120:123], v35, s[92:95], 0 offen offset:2048// 0000000039CC: E05C1800 80977823
	v_mfma_i32_16x16x32_i8 v[156:159], a[52:53], v[180:181], v[156:159]// 0000000039D4: D3D7009C 0E736934
	v_mfma_i32_16x16x32_i8 v[156:159], a[54:55], v[182:183], v[156:159]// 0000000039DC: D3D7009C 0E736D36
	v_mfma_i32_16x16x32_i8 v[156:159], a[56:57], v[184:185], v[156:159]// 0000000039E4: D3D7009C 0E737138
	v_mfma_i32_16x16x32_i8 v[156:159], a[58:59], v[186:187], v[156:159]// 0000000039EC: D3D7009C 0E73753A
	buffer_load_dwordx4 a[124:127], v35, s[92:95], 0 offen offset:3072// 0000000039F4: E05C1C00 80977C23
	v_mfma_i32_16x16x32_i8 v[156:159], a[60:61], v[188:189], v[156:159]// 0000000039FC: D3D7009C 0E73793C
	v_mfma_i32_16x16x32_i8 v[156:159], a[62:63], v[190:191], v[156:159]// 000000003A04: D3D7009C 0E737D3E
	s_waitcnt vmcnt(8)                                         // 000000003A0C: BF8C0F78
	s_barrier                                                  // 000000003A10: BF8A0000
	v_mfma_i32_16x16x32_i8 v[64:67], a[64:65], v[160:161], v[64:67]// 000000003A14: D3D70040 0D034140
	v_mfma_i32_16x16x32_i8 v[64:67], a[66:67], v[162:163], v[64:67]// 000000003A1C: D3D70040 0D034542
	buffer_load_dwordx4 a[0:3], v32, s[24:27], 0 offen         // 000000003A24: E05C1000 80860020
	v_mfma_i32_16x16x32_i8 v[64:67], a[68:69], v[164:165], v[64:67]// 000000003A2C: D3D70040 0D034944
	v_mfma_i32_16x16x32_i8 v[64:67], a[70:71], v[166:167], v[64:67]// 000000003A34: D3D70040 0D034D46
	v_mfma_i32_16x16x32_i8 v[64:67], a[72:73], v[168:169], v[64:67]// 000000003A3C: D3D70040 0D035148
	v_mfma_i32_16x16x32_i8 v[64:67], a[74:75], v[170:171], v[64:67]// 000000003A44: D3D70040 0D03554A
	buffer_load_dwordx4 a[4:7], v32, s[24:27], 0 offen offset:1024// 000000003A4C: E05C1400 80860420
	v_mfma_i32_16x16x32_i8 v[64:67], a[76:77], v[172:173], v[64:67]// 000000003A54: D3D70040 0D03594C
	v_mfma_i32_16x16x32_i8 v[64:67], a[78:79], v[174:175], v[64:67]// 000000003A5C: D3D70040 0D035D4E
	v_mfma_i32_16x16x32_i8 v[68:71], a[64:65], v[176:177], v[68:71]// 000000003A64: D3D70044 0D136140
	v_mfma_i32_16x16x32_i8 v[68:71], a[66:67], v[178:179], v[68:71]// 000000003A6C: D3D70044 0D136542
	buffer_load_dwordx4 a[8:11], v32, s[24:27], 0 offen offset:2048// 000000003A74: E05C1800 80860820
	v_mfma_i32_16x16x32_i8 v[68:71], a[68:69], v[180:181], v[68:71]// 000000003A7C: D3D70044 0D136944
	v_mfma_i32_16x16x32_i8 v[68:71], a[70:71], v[182:183], v[68:71]// 000000003A84: D3D70044 0D136D46
	v_mfma_i32_16x16x32_i8 v[68:71], a[72:73], v[184:185], v[68:71]// 000000003A8C: D3D70044 0D137148
	v_mfma_i32_16x16x32_i8 v[68:71], a[74:75], v[186:187], v[68:71]// 000000003A94: D3D70044 0D13754A
	buffer_load_dwordx4 a[12:15], v32, s[24:27], 0 offen offset:3072// 000000003A9C: E05C1C00 80860C20
	v_mfma_i32_16x16x32_i8 v[68:71], a[76:77], v[188:189], v[68:71]// 000000003AA4: D3D70044 0D13794C
	v_mfma_i32_16x16x32_i8 v[68:71], a[78:79], v[190:191], v[68:71]// 000000003AAC: D3D70044 0D137D4E
	v_mfma_i32_16x16x32_i8 v[72:75], a[80:81], v[160:161], v[72:75]// 000000003AB4: D3D70048 0D234150
	v_mfma_i32_16x16x32_i8 v[72:75], a[82:83], v[162:163], v[72:75]// 000000003ABC: D3D70048 0D234552
	buffer_load_dwordx4 a[16:19], v33, s[24:27], 0 offen       // 000000003AC4: E05C1000 80861021
	v_mfma_i32_16x16x32_i8 v[72:75], a[84:85], v[164:165], v[72:75]// 000000003ACC: D3D70048 0D234954
	v_mfma_i32_16x16x32_i8 v[72:75], a[86:87], v[166:167], v[72:75]// 000000003AD4: D3D70048 0D234D56
	v_mfma_i32_16x16x32_i8 v[72:75], a[88:89], v[168:169], v[72:75]// 000000003ADC: D3D70048 0D235158
	v_mfma_i32_16x16x32_i8 v[72:75], a[90:91], v[170:171], v[72:75]// 000000003AE4: D3D70048 0D23555A
	buffer_load_dwordx4 a[20:23], v33, s[24:27], 0 offen offset:1024// 000000003AEC: E05C1400 80861421
	v_mfma_i32_16x16x32_i8 v[72:75], a[92:93], v[172:173], v[72:75]// 000000003AF4: D3D70048 0D23595C
	v_mfma_i32_16x16x32_i8 v[72:75], a[94:95], v[174:175], v[72:75]// 000000003AFC: D3D70048 0D235D5E
	v_mfma_i32_16x16x32_i8 v[76:79], a[80:81], v[176:177], v[76:79]// 000000003B04: D3D7004C 0D336150
	v_mfma_i32_16x16x32_i8 v[76:79], a[82:83], v[178:179], v[76:79]// 000000003B0C: D3D7004C 0D336552
	buffer_load_dwordx4 a[24:27], v33, s[24:27], 0 offen offset:2048// 000000003B14: E05C1800 80861821
	v_mfma_i32_16x16x32_i8 v[76:79], a[84:85], v[180:181], v[76:79]// 000000003B1C: D3D7004C 0D336954
	v_mfma_i32_16x16x32_i8 v[76:79], a[86:87], v[182:183], v[76:79]// 000000003B24: D3D7004C 0D336D56
	v_mfma_i32_16x16x32_i8 v[76:79], a[88:89], v[184:185], v[76:79]// 000000003B2C: D3D7004C 0D337158
	v_mfma_i32_16x16x32_i8 v[76:79], a[90:91], v[186:187], v[76:79]// 000000003B34: D3D7004C 0D33755A
	buffer_load_dwordx4 a[28:31], v33, s[24:27], 0 offen offset:3072// 000000003B3C: E05C1C00 80861C21
	v_mfma_i32_16x16x32_i8 v[76:79], a[92:93], v[188:189], v[76:79]// 000000003B44: D3D7004C 0D33795C
	v_mfma_i32_16x16x32_i8 v[76:79], a[94:95], v[190:191], v[76:79]// 000000003B4C: D3D7004C 0D337D5E
	s_waitcnt vmcnt(12)                                        // 000000003B54: BF8C0F7C
	v_mfma_i32_16x16x32_i8 v[80:83], a[96:97], v[160:161], v[80:83]// 000000003B58: D3D70050 0D434160
	v_mfma_i32_16x16x32_i8 v[80:83], a[98:99], v[162:163], v[80:83]// 000000003B60: D3D70050 0D434562
	buffer_load_dwordx4 a[32:35], v34, s[24:27], 0 offen       // 000000003B68: E05C1000 80862022
	v_mfma_i32_16x16x32_i8 v[80:83], a[100:101], v[164:165], v[80:83]// 000000003B70: D3D70050 0D434964
	v_mfma_i32_16x16x32_i8 v[80:83], a[102:103], v[166:167], v[80:83]// 000000003B78: D3D70050 0D434D66
	ds_read_b128 v[192:195], v2 offset:8320                    // 000000003B80: D9FE2080 C0000002
	v_mfma_i32_16x16x32_i8 v[80:83], a[104:105], v[168:169], v[80:83]// 000000003B88: D3D70050 0D435168
	v_mfma_i32_16x16x32_i8 v[80:83], a[106:107], v[170:171], v[80:83]// 000000003B90: D3D70050 0D43556A
	buffer_load_dwordx4 a[36:39], v34, s[24:27], 0 offen offset:1024// 000000003B98: E05C1400 80862422
	v_mfma_i32_16x16x32_i8 v[80:83], a[108:109], v[172:173], v[80:83]// 000000003BA0: D3D70050 0D43596C
	v_mfma_i32_16x16x32_i8 v[80:83], a[110:111], v[174:175], v[80:83]// 000000003BA8: D3D70050 0D435D6E
	ds_read_b128 v[196:199], v2 offset:8384                    // 000000003BB0: D9FE20C0 C4000002
	v_mfma_i32_16x16x32_i8 v[84:87], a[96:97], v[176:177], v[84:87]// 000000003BB8: D3D70054 0D536160
	v_mfma_i32_16x16x32_i8 v[84:87], a[98:99], v[178:179], v[84:87]// 000000003BC0: D3D70054 0D536562
	buffer_load_dwordx4 a[40:43], v34, s[24:27], 0 offen offset:2048// 000000003BC8: E05C1800 80862822
	v_mfma_i32_16x16x32_i8 v[84:87], a[100:101], v[180:181], v[84:87]// 000000003BD0: D3D70054 0D536964
	v_mfma_i32_16x16x32_i8 v[84:87], a[102:103], v[182:183], v[84:87]// 000000003BD8: D3D70054 0D536D66
	ds_read_b128 v[200:203], v2 offset:8448                    // 000000003BE0: D9FE2100 C8000002
	v_mfma_i32_16x16x32_i8 v[84:87], a[104:105], v[184:185], v[84:87]// 000000003BE8: D3D70054 0D537168
	v_mfma_i32_16x16x32_i8 v[84:87], a[106:107], v[186:187], v[84:87]// 000000003BF0: D3D70054 0D53756A
	buffer_load_dwordx4 a[44:47], v34, s[24:27], 0 offen offset:3072// 000000003BF8: E05C1C00 80862C22
	v_mfma_i32_16x16x32_i8 v[84:87], a[108:109], v[188:189], v[84:87]// 000000003C00: D3D70054 0D53796C
	v_mfma_i32_16x16x32_i8 v[84:87], a[110:111], v[190:191], v[84:87]// 000000003C08: D3D70054 0D537D6E
	ds_read_b128 v[204:207], v2 offset:8512                    // 000000003C10: D9FE2140 CC000002
	s_waitcnt vmcnt(12)                                        // 000000003C18: BF8C0F7C
	v_mfma_i32_16x16x32_i8 v[88:91], a[112:113], v[160:161], v[88:91]// 000000003C1C: D3D70058 0D634170
	v_mfma_i32_16x16x32_i8 v[88:91], a[114:115], v[162:163], v[88:91]// 000000003C24: D3D70058 0D634572
	buffer_load_dwordx4 a[48:51], v35, s[24:27], 0 offen       // 000000003C2C: E05C1000 80863023
	v_mfma_i32_16x16x32_i8 v[88:91], a[116:117], v[164:165], v[88:91]// 000000003C34: D3D70058 0D634974
	v_mfma_i32_16x16x32_i8 v[88:91], a[118:119], v[166:167], v[88:91]// 000000003C3C: D3D70058 0D634D76
	ds_read_b128 v[208:211], v2 offset:9344                    // 000000003C44: D9FE2480 D0000002
	v_mfma_i32_16x16x32_i8 v[88:91], a[120:121], v[168:169], v[88:91]// 000000003C4C: D3D70058 0D635178
	v_mfma_i32_16x16x32_i8 v[88:91], a[122:123], v[170:171], v[88:91]// 000000003C54: D3D70058 0D63557A
	buffer_load_dwordx4 a[52:55], v35, s[24:27], 0 offen offset:1024// 000000003C5C: E05C1400 80863423
	v_mfma_i32_16x16x32_i8 v[88:91], a[124:125], v[172:173], v[88:91]// 000000003C64: D3D70058 0D63597C
	v_mfma_i32_16x16x32_i8 v[88:91], a[126:127], v[174:175], v[88:91]// 000000003C6C: D3D70058 0D635D7E
	ds_read_b128 v[212:215], v2 offset:9408                    // 000000003C74: D9FE24C0 D4000002
	v_mfma_i32_16x16x32_i8 v[92:95], a[112:113], v[176:177], v[92:95]// 000000003C7C: D3D7005C 0D736170
	v_mfma_i32_16x16x32_i8 v[92:95], a[114:115], v[178:179], v[92:95]// 000000003C84: D3D7005C 0D736572
	buffer_load_dwordx4 a[56:59], v35, s[24:27], 0 offen offset:2048// 000000003C8C: E05C1800 80863823
	v_mfma_i32_16x16x32_i8 v[92:95], a[116:117], v[180:181], v[92:95]// 000000003C94: D3D7005C 0D736974
	v_mfma_i32_16x16x32_i8 v[92:95], a[118:119], v[182:183], v[92:95]// 000000003C9C: D3D7005C 0D736D76
	ds_read_b128 v[216:219], v2 offset:9472                    // 000000003CA4: D9FE2500 D8000002
	v_mfma_i32_16x16x32_i8 v[92:95], a[120:121], v[184:185], v[92:95]// 000000003CAC: D3D7005C 0D737178
	v_mfma_i32_16x16x32_i8 v[92:95], a[122:123], v[186:187], v[92:95]// 000000003CB4: D3D7005C 0D73757A
	buffer_load_dwordx4 a[60:63], v35, s[24:27], 0 offen offset:3072// 000000003CBC: E05C1C00 80863C23
	v_mfma_i32_16x16x32_i8 v[92:95], a[124:125], v[188:189], v[92:95]// 000000003CC4: D3D7005C 0D73797C
	v_mfma_i32_16x16x32_i8 v[92:95], a[126:127], v[190:191], v[92:95]// 000000003CCC: D3D7005C 0D737D7E
	ds_read_b128 v[220:223], v2 offset:9536                    // 000000003CD4: D9FE2540 DC000002
	s_add_u32 s60, 0x200, s80                                  // 000000003CDC: 803C50FF 00000200
	s_cmp_lt_u32 s60, s81                                      // 000000003CE4: BF0A513C
	s_cselect_b32 s57, s57, 0                                  // 000000003CE8: 85398039
	s_add_u32 s60, 0x200, s80                                  // 000000003CEC: 803C50FF 00000200
	s_cmp_lt_u32 s60, s81                                      // 000000003CF4: BF0A513C
	s_cselect_b32 s58, s58, 0                                  // 000000003CF8: 853A803A
	s_add_u32 s20, s57, s20                                    // 000000003CFC: 80141439
	s_addc_u32 s21, 0, s21                                     // 000000003D00: 82151580
	s_add_u32 s24, s58, s24                                    // 000000003D04: 8018183A
	s_addc_u32 s25, 0, s25                                     // 000000003D08: 82191980
	s_add_u32 s92, s90, s92                                    // 000000003D0C: 805C5C5A
	s_addc_u32 s93, 0, s93                                     // 000000003D10: 825D5D80
	s_addk_i32 s80, 0x100                                      // 000000003D14: B7500100
	s_cmp_lt_i32 s80, s81                                      // 000000003D18: BF045150
	s_cbranch_scc0 label_0551                                  // 000000003D1C: BF840189
	s_waitcnt vmcnt(8) lgkmcnt(0)                              // 000000003D20: BF8C0078
	s_barrier                                                  // 000000003D24: BF8A0000
	v_mfma_i32_16x16x32_i8 v[128:131], a[0:1], v[192:193], v[128:131]// 000000003D28: D3D70080 0E038100
	v_mfma_i32_16x16x32_i8 v[128:131], a[2:3], v[194:195], v[128:131]// 000000003D30: D3D70080 0E038502
	buffer_load_dwordx4 a[64:67], v32, s[92:95], 0 offen       // 000000003D38: E05C1000 80974020
	v_mfma_i32_16x16x32_i8 v[128:131], a[4:5], v[196:197], v[128:131]// 000000003D40: D3D70080 0E038904
	v_mfma_i32_16x16x32_i8 v[128:131], a[6:7], v[198:199], v[128:131]// 000000003D48: D3D70080 0E038D06
	buffer_load_dword v24, s[20:23], 0 offen lds               // 000000003D50: E0511000 80050018
	s_add_u32 m0, 0x100, s50                                   // 000000003D58: 807C32FF 00000100
	v_mfma_i32_16x16x32_i8 v[128:131], a[8:9], v[200:201], v[128:131]// 000000003D60: D3D70080 0E039108
	v_mfma_i32_16x16x32_i8 v[128:131], a[10:11], v[202:203], v[128:131]// 000000003D68: D3D70080 0E03950A
	buffer_load_dwordx4 a[68:71], v32, s[92:95], 0 offen offset:1024// 000000003D70: E05C1400 80974420
	v_mfma_i32_16x16x32_i8 v[128:131], a[12:13], v[204:205], v[128:131]// 000000003D78: D3D70080 0E03990C
	v_mfma_i32_16x16x32_i8 v[128:131], a[14:15], v[206:207], v[128:131]// 000000003D80: D3D70080 0E039D0E
	buffer_load_dword v25, s[20:23], 0 offen lds               // 000000003D88: E0511000 80050019
	s_add_u32 m0, 0x200, s50                                   // 000000003D90: 807C32FF 00000200
	v_mfma_i32_16x16x32_i8 v[132:135], a[0:1], v[208:209], v[132:135]// 000000003D98: D3D70084 0E13A100
	v_mfma_i32_16x16x32_i8 v[132:135], a[2:3], v[210:211], v[132:135]// 000000003DA0: D3D70084 0E13A502
	buffer_load_dwordx4 a[72:75], v32, s[92:95], 0 offen offset:2048// 000000003DA8: E05C1800 80974820
	v_mfma_i32_16x16x32_i8 v[132:135], a[4:5], v[212:213], v[132:135]// 000000003DB0: D3D70084 0E13A904
	v_mfma_i32_16x16x32_i8 v[132:135], a[6:7], v[214:215], v[132:135]// 000000003DB8: D3D70084 0E13AD06
	buffer_load_dword v26, s[20:23], 0 offen lds               // 000000003DC0: E0511000 8005001A
	s_add_u32 m0, 0x300, s50                                   // 000000003DC8: 807C32FF 00000300
	v_mfma_i32_16x16x32_i8 v[132:135], a[8:9], v[216:217], v[132:135]// 000000003DD0: D3D70084 0E13B108
	v_mfma_i32_16x16x32_i8 v[132:135], a[10:11], v[218:219], v[132:135]// 000000003DD8: D3D70084 0E13B50A
	buffer_load_dwordx4 a[76:79], v32, s[92:95], 0 offen offset:3072// 000000003DE0: E05C1C00 80974C20
	v_mfma_i32_16x16x32_i8 v[132:135], a[12:13], v[220:221], v[132:135]// 000000003DE8: D3D70084 0E13B90C
	v_mfma_i32_16x16x32_i8 v[132:135], a[14:15], v[222:223], v[132:135]// 000000003DF0: D3D70084 0E13BD0E
	buffer_load_dword v27, s[20:23], 0 offen lds               // 000000003DF8: E0511000 8005001B
	s_add_u32 m0, 0x400, s50                                   // 000000003E00: 807C32FF 00000400
	v_mfma_i32_16x16x32_i8 v[136:139], a[16:17], v[192:193], v[136:139]// 000000003E08: D3D70088 0E238110
	v_mfma_i32_16x16x32_i8 v[136:139], a[18:19], v[194:195], v[136:139]// 000000003E10: D3D70088 0E238512
	buffer_load_dwordx4 a[80:83], v33, s[92:95], 0 offen       // 000000003E18: E05C1000 80975021
	v_mfma_i32_16x16x32_i8 v[136:139], a[20:21], v[196:197], v[136:139]// 000000003E20: D3D70088 0E238914
	v_mfma_i32_16x16x32_i8 v[136:139], a[22:23], v[198:199], v[136:139]// 000000003E28: D3D70088 0E238D16
	buffer_load_dword v28, s[20:23], 0 offen lds               // 000000003E30: E0511000 8005001C
	s_add_u32 m0, 0x500, s50                                   // 000000003E38: 807C32FF 00000500
	v_mfma_i32_16x16x32_i8 v[136:139], a[24:25], v[200:201], v[136:139]// 000000003E40: D3D70088 0E239118
	v_mfma_i32_16x16x32_i8 v[136:139], a[26:27], v[202:203], v[136:139]// 000000003E48: D3D70088 0E23951A
	buffer_load_dwordx4 a[84:87], v33, s[92:95], 0 offen offset:1024// 000000003E50: E05C1400 80975421
	v_mfma_i32_16x16x32_i8 v[136:139], a[28:29], v[204:205], v[136:139]// 000000003E58: D3D70088 0E23991C
	v_mfma_i32_16x16x32_i8 v[136:139], a[30:31], v[206:207], v[136:139]// 000000003E60: D3D70088 0E239D1E
	buffer_load_dword v29, s[20:23], 0 offen lds               // 000000003E68: E0511000 8005001D
	s_add_u32 m0, 0x600, s50                                   // 000000003E70: 807C32FF 00000600
	v_mfma_i32_16x16x32_i8 v[140:143], a[16:17], v[208:209], v[140:143]// 000000003E78: D3D7008C 0E33A110
	v_mfma_i32_16x16x32_i8 v[140:143], a[18:19], v[210:211], v[140:143]// 000000003E80: D3D7008C 0E33A512
	buffer_load_dwordx4 a[88:91], v33, s[92:95], 0 offen offset:2048// 000000003E88: E05C1800 80975821
	v_mfma_i32_16x16x32_i8 v[140:143], a[20:21], v[212:213], v[140:143]// 000000003E90: D3D7008C 0E33A914
	v_mfma_i32_16x16x32_i8 v[140:143], a[22:23], v[214:215], v[140:143]// 000000003E98: D3D7008C 0E33AD16
	buffer_load_dword v30, s[20:23], 0 offen lds               // 000000003EA0: E0511000 8005001E
	s_add_u32 m0, 0x700, s50                                   // 000000003EA8: 807C32FF 00000700
	v_mfma_i32_16x16x32_i8 v[140:143], a[24:25], v[216:217], v[140:143]// 000000003EB0: D3D7008C 0E33B118
	v_mfma_i32_16x16x32_i8 v[140:143], a[26:27], v[218:219], v[140:143]// 000000003EB8: D3D7008C 0E33B51A
	buffer_load_dwordx4 a[92:95], v33, s[92:95], 0 offen offset:3072// 000000003EC0: E05C1C00 80975C21
	v_mfma_i32_16x16x32_i8 v[140:143], a[28:29], v[220:221], v[140:143]// 000000003EC8: D3D7008C 0E33B91C
	v_mfma_i32_16x16x32_i8 v[140:143], a[30:31], v[222:223], v[140:143]// 000000003ED0: D3D7008C 0E33BD1E
	buffer_load_dword v31, s[20:23], 0 offen lds               // 000000003ED8: E0511000 8005001F
	s_add_u32 m0, 0, s51                                       // 000000003EE0: 807C3380
	s_waitcnt vmcnt(20)                                        // 000000003EE4: BF8C4F74
	v_mfma_i32_16x16x32_i8 v[144:147], a[32:33], v[192:193], v[144:147]// 000000003EE8: D3D70090 0E438120
	v_mfma_i32_16x16x32_i8 v[144:147], a[34:35], v[194:195], v[144:147]// 000000003EF0: D3D70090 0E438522
	buffer_load_dwordx4 a[96:99], v34, s[92:95], 0 offen       // 000000003EF8: E05C1000 80976022
	v_mfma_i32_16x16x32_i8 v[144:147], a[36:37], v[196:197], v[144:147]// 000000003F00: D3D70090 0E438924
	v_mfma_i32_16x16x32_i8 v[144:147], a[38:39], v[198:199], v[144:147]// 000000003F08: D3D70090 0E438D26
	v_mfma_i32_16x16x32_i8 v[144:147], a[40:41], v[200:201], v[144:147]// 000000003F10: D3D70090 0E439128
	v_mfma_i32_16x16x32_i8 v[144:147], a[42:43], v[202:203], v[144:147]// 000000003F18: D3D70090 0E43952A
	buffer_load_dwordx4 a[100:103], v34, s[92:95], 0 offen offset:1024// 000000003F20: E05C1400 80976422
	v_mfma_i32_16x16x32_i8 v[144:147], a[44:45], v[204:205], v[144:147]// 000000003F28: D3D70090 0E43992C
	v_mfma_i32_16x16x32_i8 v[144:147], a[46:47], v[206:207], v[144:147]// 000000003F30: D3D70090 0E439D2E
	v_mfma_i32_16x16x32_i8 v[148:151], a[32:33], v[208:209], v[148:151]// 000000003F38: D3D70094 0E53A120
	v_mfma_i32_16x16x32_i8 v[148:151], a[34:35], v[210:211], v[148:151]// 000000003F40: D3D70094 0E53A522
	buffer_load_dwordx4 a[104:107], v34, s[92:95], 0 offen offset:2048// 000000003F48: E05C1800 80976822
	v_mfma_i32_16x16x32_i8 v[148:151], a[36:37], v[212:213], v[148:151]// 000000003F50: D3D70094 0E53A924
	v_mfma_i32_16x16x32_i8 v[148:151], a[38:39], v[214:215], v[148:151]// 000000003F58: D3D70094 0E53AD26
	v_mfma_i32_16x16x32_i8 v[148:151], a[40:41], v[216:217], v[148:151]// 000000003F60: D3D70094 0E53B128
	v_mfma_i32_16x16x32_i8 v[148:151], a[42:43], v[218:219], v[148:151]// 000000003F68: D3D70094 0E53B52A
	buffer_load_dwordx4 a[108:111], v34, s[92:95], 0 offen offset:3072// 000000003F70: E05C1C00 80976C22
	v_mfma_i32_16x16x32_i8 v[148:151], a[44:45], v[220:221], v[148:151]// 000000003F78: D3D70094 0E53B92C
	v_mfma_i32_16x16x32_i8 v[148:151], a[46:47], v[222:223], v[148:151]// 000000003F80: D3D70094 0E53BD2E
	s_waitcnt vmcnt(20)                                        // 000000003F88: BF8C4F74
	v_mfma_i32_16x16x32_i8 v[152:155], a[48:49], v[192:193], v[152:155]// 000000003F8C: D3D70098 0E638130
	v_mfma_i32_16x16x32_i8 v[152:155], a[50:51], v[194:195], v[152:155]// 000000003F94: D3D70098 0E638532
	buffer_load_dwordx4 a[112:115], v35, s[92:95], 0 offen     // 000000003F9C: E05C1000 80977023
	v_mfma_i32_16x16x32_i8 v[152:155], a[52:53], v[196:197], v[152:155]// 000000003FA4: D3D70098 0E638934
	v_mfma_i32_16x16x32_i8 v[152:155], a[54:55], v[198:199], v[152:155]// 000000003FAC: D3D70098 0E638D36
	v_mfma_i32_16x16x32_i8 v[152:155], a[56:57], v[200:201], v[152:155]// 000000003FB4: D3D70098 0E639138
	v_mfma_i32_16x16x32_i8 v[152:155], a[58:59], v[202:203], v[152:155]// 000000003FBC: D3D70098 0E63953A
	buffer_load_dwordx4 a[116:119], v35, s[92:95], 0 offen offset:1024// 000000003FC4: E05C1400 80977423
	v_mfma_i32_16x16x32_i8 v[152:155], a[60:61], v[204:205], v[152:155]// 000000003FCC: D3D70098 0E63993C
	v_mfma_i32_16x16x32_i8 v[152:155], a[62:63], v[206:207], v[152:155]// 000000003FD4: D3D70098 0E639D3E
	v_mfma_i32_16x16x32_i8 v[156:159], a[48:49], v[208:209], v[156:159]// 000000003FDC: D3D7009C 0E73A130
	v_mfma_i32_16x16x32_i8 v[156:159], a[50:51], v[210:211], v[156:159]// 000000003FE4: D3D7009C 0E73A532
	buffer_load_dwordx4 a[120:123], v35, s[92:95], 0 offen offset:2048// 000000003FEC: E05C1800 80977823
	v_mfma_i32_16x16x32_i8 v[156:159], a[52:53], v[212:213], v[156:159]// 000000003FF4: D3D7009C 0E73A934
	v_mfma_i32_16x16x32_i8 v[156:159], a[54:55], v[214:215], v[156:159]// 000000003FFC: D3D7009C 0E73AD36
	v_mfma_i32_16x16x32_i8 v[156:159], a[56:57], v[216:217], v[156:159]// 000000004004: D3D7009C 0E73B138
	v_mfma_i32_16x16x32_i8 v[156:159], a[58:59], v[218:219], v[156:159]// 00000000400C: D3D7009C 0E73B53A
	buffer_load_dwordx4 a[124:127], v35, s[92:95], 0 offen offset:3072// 000000004014: E05C1C00 80977C23
	v_mfma_i32_16x16x32_i8 v[156:159], a[60:61], v[220:221], v[156:159]// 00000000401C: D3D7009C 0E73B93C
	v_mfma_i32_16x16x32_i8 v[156:159], a[62:63], v[222:223], v[156:159]// 000000004024: D3D7009C 0E73BD3E
	s_waitcnt vmcnt(8)                                         // 00000000402C: BF8C0F78
	s_barrier                                                  // 000000004030: BF8A0000
	v_mfma_i32_16x16x32_i8 v[64:67], a[64:65], v[192:193], v[64:67]// 000000004034: D3D70040 0D038140
	v_mfma_i32_16x16x32_i8 v[64:67], a[66:67], v[194:195], v[64:67]// 00000000403C: D3D70040 0D038542
	buffer_load_dwordx4 a[0:3], v32, s[24:27], 0 offen         // 000000004044: E05C1000 80860020
	v_mfma_i32_16x16x32_i8 v[64:67], a[68:69], v[196:197], v[64:67]// 00000000404C: D3D70040 0D038944
	v_mfma_i32_16x16x32_i8 v[64:67], a[70:71], v[198:199], v[64:67]// 000000004054: D3D70040 0D038D46
	v_mfma_i32_16x16x32_i8 v[64:67], a[72:73], v[200:201], v[64:67]// 00000000405C: D3D70040 0D039148
	v_mfma_i32_16x16x32_i8 v[64:67], a[74:75], v[202:203], v[64:67]// 000000004064: D3D70040 0D03954A
	buffer_load_dwordx4 a[4:7], v32, s[24:27], 0 offen offset:1024// 00000000406C: E05C1400 80860420
	v_mfma_i32_16x16x32_i8 v[64:67], a[76:77], v[204:205], v[64:67]// 000000004074: D3D70040 0D03994C
	v_mfma_i32_16x16x32_i8 v[64:67], a[78:79], v[206:207], v[64:67]// 00000000407C: D3D70040 0D039D4E
	v_mfma_i32_16x16x32_i8 v[68:71], a[64:65], v[208:209], v[68:71]// 000000004084: D3D70044 0D13A140
	v_mfma_i32_16x16x32_i8 v[68:71], a[66:67], v[210:211], v[68:71]// 00000000408C: D3D70044 0D13A542
	buffer_load_dwordx4 a[8:11], v32, s[24:27], 0 offen offset:2048// 000000004094: E05C1800 80860820
	v_mfma_i32_16x16x32_i8 v[68:71], a[68:69], v[212:213], v[68:71]// 00000000409C: D3D70044 0D13A944
	v_mfma_i32_16x16x32_i8 v[68:71], a[70:71], v[214:215], v[68:71]// 0000000040A4: D3D70044 0D13AD46
	v_mfma_i32_16x16x32_i8 v[68:71], a[72:73], v[216:217], v[68:71]// 0000000040AC: D3D70044 0D13B148
	v_mfma_i32_16x16x32_i8 v[68:71], a[74:75], v[218:219], v[68:71]// 0000000040B4: D3D70044 0D13B54A
	buffer_load_dwordx4 a[12:15], v32, s[24:27], 0 offen offset:3072// 0000000040BC: E05C1C00 80860C20
	v_mfma_i32_16x16x32_i8 v[68:71], a[76:77], v[220:221], v[68:71]// 0000000040C4: D3D70044 0D13B94C
	v_mfma_i32_16x16x32_i8 v[68:71], a[78:79], v[222:223], v[68:71]// 0000000040CC: D3D70044 0D13BD4E
	v_mfma_i32_16x16x32_i8 v[72:75], a[80:81], v[192:193], v[72:75]// 0000000040D4: D3D70048 0D238150
	v_mfma_i32_16x16x32_i8 v[72:75], a[82:83], v[194:195], v[72:75]// 0000000040DC: D3D70048 0D238552
	buffer_load_dwordx4 a[16:19], v33, s[24:27], 0 offen       // 0000000040E4: E05C1000 80861021
	v_mfma_i32_16x16x32_i8 v[72:75], a[84:85], v[196:197], v[72:75]// 0000000040EC: D3D70048 0D238954
	v_mfma_i32_16x16x32_i8 v[72:75], a[86:87], v[198:199], v[72:75]// 0000000040F4: D3D70048 0D238D56
	v_mfma_i32_16x16x32_i8 v[72:75], a[88:89], v[200:201], v[72:75]// 0000000040FC: D3D70048 0D239158
	v_mfma_i32_16x16x32_i8 v[72:75], a[90:91], v[202:203], v[72:75]// 000000004104: D3D70048 0D23955A
	buffer_load_dwordx4 a[20:23], v33, s[24:27], 0 offen offset:1024// 00000000410C: E05C1400 80861421
	v_mfma_i32_16x16x32_i8 v[72:75], a[92:93], v[204:205], v[72:75]// 000000004114: D3D70048 0D23995C
	v_mfma_i32_16x16x32_i8 v[72:75], a[94:95], v[206:207], v[72:75]// 00000000411C: D3D70048 0D239D5E
	v_mfma_i32_16x16x32_i8 v[76:79], a[80:81], v[208:209], v[76:79]// 000000004124: D3D7004C 0D33A150
	v_mfma_i32_16x16x32_i8 v[76:79], a[82:83], v[210:211], v[76:79]// 00000000412C: D3D7004C 0D33A552
	buffer_load_dwordx4 a[24:27], v33, s[24:27], 0 offen offset:2048// 000000004134: E05C1800 80861821
	v_mfma_i32_16x16x32_i8 v[76:79], a[84:85], v[212:213], v[76:79]// 00000000413C: D3D7004C 0D33A954
	v_mfma_i32_16x16x32_i8 v[76:79], a[86:87], v[214:215], v[76:79]// 000000004144: D3D7004C 0D33AD56
	v_mfma_i32_16x16x32_i8 v[76:79], a[88:89], v[216:217], v[76:79]// 00000000414C: D3D7004C 0D33B158
	v_mfma_i32_16x16x32_i8 v[76:79], a[90:91], v[218:219], v[76:79]// 000000004154: D3D7004C 0D33B55A
	buffer_load_dwordx4 a[28:31], v33, s[24:27], 0 offen offset:3072// 00000000415C: E05C1C00 80861C21
	v_mfma_i32_16x16x32_i8 v[76:79], a[92:93], v[220:221], v[76:79]// 000000004164: D3D7004C 0D33B95C
	v_mfma_i32_16x16x32_i8 v[76:79], a[94:95], v[222:223], v[76:79]// 00000000416C: D3D7004C 0D33BD5E
	s_waitcnt vmcnt(12)                                        // 000000004174: BF8C0F7C
	v_mfma_i32_16x16x32_i8 v[80:83], a[96:97], v[192:193], v[80:83]// 000000004178: D3D70050 0D438160
	v_mfma_i32_16x16x32_i8 v[80:83], a[98:99], v[194:195], v[80:83]// 000000004180: D3D70050 0D438562
	buffer_load_dwordx4 a[32:35], v34, s[24:27], 0 offen       // 000000004188: E05C1000 80862022
	v_mfma_i32_16x16x32_i8 v[80:83], a[100:101], v[196:197], v[80:83]// 000000004190: D3D70050 0D438964
	v_mfma_i32_16x16x32_i8 v[80:83], a[102:103], v[198:199], v[80:83]// 000000004198: D3D70050 0D438D66
	ds_read_b128 v[160:163], v2                                // 0000000041A0: D9FE0000 A0000002
	v_mfma_i32_16x16x32_i8 v[80:83], a[104:105], v[200:201], v[80:83]// 0000000041A8: D3D70050 0D439168
	v_mfma_i32_16x16x32_i8 v[80:83], a[106:107], v[202:203], v[80:83]// 0000000041B0: D3D70050 0D43956A
	buffer_load_dwordx4 a[36:39], v34, s[24:27], 0 offen offset:1024// 0000000041B8: E05C1400 80862422
	v_mfma_i32_16x16x32_i8 v[80:83], a[108:109], v[204:205], v[80:83]// 0000000041C0: D3D70050 0D43996C
	v_mfma_i32_16x16x32_i8 v[80:83], a[110:111], v[206:207], v[80:83]// 0000000041C8: D3D70050 0D439D6E
	ds_read_b128 v[164:167], v2 offset:64                      // 0000000041D0: D9FE0040 A4000002
	v_mfma_i32_16x16x32_i8 v[84:87], a[96:97], v[208:209], v[84:87]// 0000000041D8: D3D70054 0D53A160
	v_mfma_i32_16x16x32_i8 v[84:87], a[98:99], v[210:211], v[84:87]// 0000000041E0: D3D70054 0D53A562
	buffer_load_dwordx4 a[40:43], v34, s[24:27], 0 offen offset:2048// 0000000041E8: E05C1800 80862822
	v_mfma_i32_16x16x32_i8 v[84:87], a[100:101], v[212:213], v[84:87]// 0000000041F0: D3D70054 0D53A964
	v_mfma_i32_16x16x32_i8 v[84:87], a[102:103], v[214:215], v[84:87]// 0000000041F8: D3D70054 0D53AD66
	ds_read_b128 v[168:171], v2 offset:128                     // 000000004200: D9FE0080 A8000002
	v_mfma_i32_16x16x32_i8 v[84:87], a[104:105], v[216:217], v[84:87]// 000000004208: D3D70054 0D53B168
	v_mfma_i32_16x16x32_i8 v[84:87], a[106:107], v[218:219], v[84:87]// 000000004210: D3D70054 0D53B56A
	buffer_load_dwordx4 a[44:47], v34, s[24:27], 0 offen offset:3072// 000000004218: E05C1C00 80862C22
	v_mfma_i32_16x16x32_i8 v[84:87], a[108:109], v[220:221], v[84:87]// 000000004220: D3D70054 0D53B96C
	v_mfma_i32_16x16x32_i8 v[84:87], a[110:111], v[222:223], v[84:87]// 000000004228: D3D70054 0D53BD6E
	ds_read_b128 v[172:175], v2 offset:192                     // 000000004230: D9FE00C0 AC000002
	s_waitcnt vmcnt(12)                                        // 000000004238: BF8C0F7C
	v_mfma_i32_16x16x32_i8 v[88:91], a[112:113], v[192:193], v[88:91]// 00000000423C: D3D70058 0D638170
	v_mfma_i32_16x16x32_i8 v[88:91], a[114:115], v[194:195], v[88:91]// 000000004244: D3D70058 0D638572
	buffer_load_dwordx4 a[48:51], v35, s[24:27], 0 offen       // 00000000424C: E05C1000 80863023
	v_mfma_i32_16x16x32_i8 v[88:91], a[116:117], v[196:197], v[88:91]// 000000004254: D3D70058 0D638974
	v_mfma_i32_16x16x32_i8 v[88:91], a[118:119], v[198:199], v[88:91]// 00000000425C: D3D70058 0D638D76
	ds_read_b128 v[176:179], v2 offset:1024                    // 000000004264: D9FE0400 B0000002
	v_mfma_i32_16x16x32_i8 v[88:91], a[120:121], v[200:201], v[88:91]// 00000000426C: D3D70058 0D639178
	v_mfma_i32_16x16x32_i8 v[88:91], a[122:123], v[202:203], v[88:91]// 000000004274: D3D70058 0D63957A
	buffer_load_dwordx4 a[52:55], v35, s[24:27], 0 offen offset:1024// 00000000427C: E05C1400 80863423
	v_mfma_i32_16x16x32_i8 v[88:91], a[124:125], v[204:205], v[88:91]// 000000004284: D3D70058 0D63997C
	v_mfma_i32_16x16x32_i8 v[88:91], a[126:127], v[206:207], v[88:91]// 00000000428C: D3D70058 0D639D7E
	ds_read_b128 v[180:183], v2 offset:1088                    // 000000004294: D9FE0440 B4000002
	v_mfma_i32_16x16x32_i8 v[92:95], a[112:113], v[208:209], v[92:95]// 00000000429C: D3D7005C 0D73A170
	v_mfma_i32_16x16x32_i8 v[92:95], a[114:115], v[210:211], v[92:95]// 0000000042A4: D3D7005C 0D73A572
	buffer_load_dwordx4 a[56:59], v35, s[24:27], 0 offen offset:2048// 0000000042AC: E05C1800 80863823
	v_mfma_i32_16x16x32_i8 v[92:95], a[116:117], v[212:213], v[92:95]// 0000000042B4: D3D7005C 0D73A974
	v_mfma_i32_16x16x32_i8 v[92:95], a[118:119], v[214:215], v[92:95]// 0000000042BC: D3D7005C 0D73AD76
	ds_read_b128 v[184:187], v2 offset:1152                    // 0000000042C4: D9FE0480 B8000002
	v_mfma_i32_16x16x32_i8 v[92:95], a[120:121], v[216:217], v[92:95]// 0000000042CC: D3D7005C 0D73B178
	v_mfma_i32_16x16x32_i8 v[92:95], a[122:123], v[218:219], v[92:95]// 0000000042D4: D3D7005C 0D73B57A
	buffer_load_dwordx4 a[60:63], v35, s[24:27], 0 offen offset:3072// 0000000042DC: E05C1C00 80863C23
	v_mfma_i32_16x16x32_i8 v[92:95], a[124:125], v[220:221], v[92:95]// 0000000042E4: D3D7005C 0D73B97C
	v_mfma_i32_16x16x32_i8 v[92:95], a[126:127], v[222:223], v[92:95]// 0000000042EC: D3D7005C 0D73BD7E
	ds_read_b128 v[188:191], v2 offset:1216                    // 0000000042F4: D9FE04C0 BC000002
	s_add_u32 s60, 0x200, s80                                  // 0000000042FC: 803C50FF 00000200
	s_cmp_lt_u32 s60, s81                                      // 000000004304: BF0A513C
	s_cselect_b32 s57, s57, 0                                  // 000000004308: 85398039
	s_add_u32 s60, 0x200, s80                                  // 00000000430C: 803C50FF 00000200
	s_cmp_lt_u32 s60, s81                                      // 000000004314: BF0A513C
	s_cselect_b32 s58, s58, 0                                  // 000000004318: 853A803A
	s_add_u32 s20, s57, s20                                    // 00000000431C: 80141439
	s_addc_u32 s21, 0, s21                                     // 000000004320: 82151580
	s_add_u32 s24, s58, s24                                    // 000000004324: 8018183A
	s_addc_u32 s25, 0, s25                                     // 000000004328: 82191980
	s_add_u32 s92, s90, s92                                    // 00000000432C: 805C5C5A
	s_addc_u32 s93, 0, s93                                     // 000000004330: 825D5D80
	s_addk_i32 s80, 0x100                                      // 000000004334: B7500100
	s_cmp_lt_i32 s80, s81                                      // 000000004338: BF045150
	s_cbranch_scc0 label_0551                                  // 00000000433C: BF840001
	s_branch label_0240                                        // 000000004340: BF82FCEF

0000000000004344 <label_0551>:
	s_mov_b32 s36, -1                                          // 000000004344: BEA400C1
	s_mov_b32 s37, -1                                          // 000000004348: BEA500C1
	s_mov_b64 s[60:61], 0                                      // 00000000434C: BEBC0180
	s_cmp_lt_u32 s82, s66                                      // 000000004350: BF0A4252
	s_cselect_b64 s[20:21], s[36:37], s[60:61]                 // 000000004354: 85943C24
	s_cmp_lt_u32 s83, s66                                      // 000000004358: BF0A4253
	s_cselect_b64 s[22:23], s[36:37], s[60:61]                 // 00000000435C: 85963C24
	s_cmp_lt_u32 s84, s66                                      // 000000004360: BF0A4254
	s_cselect_b64 s[24:25], s[36:37], s[60:61]                 // 000000004364: 85983C24
	s_cmp_lt_u32 s85, s66                                      // 000000004368: BF0A4255
	s_cselect_b64 s[26:27], s[36:37], s[60:61]                 // 00000000436C: 859A3C24
	s_cmp_lt_u32 s86, s66                                      // 000000004370: BF0A4256
	s_cselect_b64 s[28:29], s[36:37], s[60:61]                 // 000000004374: 859C3C24
	s_cmp_lt_u32 s87, s66                                      // 000000004378: BF0A4257
	s_cselect_b64 s[30:31], s[36:37], s[60:61]                 // 00000000437C: 859E3C24
	s_cmp_lt_u32 s88, s66                                      // 000000004380: BF0A4258
	s_cselect_b64 s[32:33], s[36:37], s[60:61]                 // 000000004384: 85A03C24
	s_cmp_lt_u32 s89, s66                                      // 000000004388: BF0A4259
	s_cselect_b64 s[34:35], s[36:37], s[60:61]                 // 00000000438C: 85A23C24
	v_cvt_f32_i32_e32 v128, v128                               // 000000004390: 7F000B80
	v_cvt_f32_i32_e32 v129, v129                               // 000000004394: 7F020B81
	v_cvt_f32_i32_e32 v130, v130                               // 000000004398: 7F040B82
	v_cvt_f32_i32_e32 v131, v131                               // 00000000439C: 7F060B83
	v_mul_f32_e32 v128, v13, v128                              // 0000000043A0: 0B01010D
	v_mul_f32_e32 v129, v13, v129                              // 0000000043A4: 0B03030D
	v_mul_f32_e32 v130, v13, v130                              // 0000000043A8: 0B05050D
	v_mul_f32_e32 v131, v13, v131                              // 0000000043AC: 0B07070D
	v_mul_f32_dpp v128, v15, v128 row_newbcast:0 row_mask:0xf bank_mask:0xf// 0000000043B0: 0B0100FA FF01500F
	v_mul_f32_dpp v129, v15, v129 row_newbcast:1 row_mask:0xf bank_mask:0xf// 0000000043B8: 0B0302FA FF01510F
	v_mul_f32_dpp v130, v15, v130 row_newbcast:2 row_mask:0xf bank_mask:0xf// 0000000043C0: 0B0504FA FF01520F
	v_mul_f32_dpp v131, v15, v131 row_newbcast:3 row_mask:0xf bank_mask:0xf// 0000000043C8: 0B0706FA FF01530F
	v_cvt_f32_i32_e32 v132, v132                               // 0000000043D0: 7F080B84
	v_cvt_f32_i32_e32 v133, v133                               // 0000000043D4: 7F0A0B85
	v_cvt_f32_i32_e32 v134, v134                               // 0000000043D8: 7F0C0B86
	v_cvt_f32_i32_e32 v135, v135                               // 0000000043DC: 7F0E0B87
	v_mul_f32_e32 v132, v14, v132                              // 0000000043E0: 0B09090E
	v_mul_f32_e32 v133, v14, v133                              // 0000000043E4: 0B0B0B0E
	v_mul_f32_e32 v134, v14, v134                              // 0000000043E8: 0B0D0D0E
	v_mul_f32_e32 v135, v14, v135                              // 0000000043EC: 0B0F0F0E
	v_mul_f32_dpp v132, v15, v132 row_newbcast:0 row_mask:0xf bank_mask:0xf// 0000000043F0: 0B0908FA FF01500F
	v_mul_f32_dpp v133, v15, v133 row_newbcast:1 row_mask:0xf bank_mask:0xf// 0000000043F8: 0B0B0AFA FF01510F
	v_mul_f32_dpp v134, v15, v134 row_newbcast:2 row_mask:0xf bank_mask:0xf// 000000004400: 0B0D0CFA FF01520F
	v_mul_f32_dpp v135, v15, v135 row_newbcast:3 row_mask:0xf bank_mask:0xf// 000000004408: 0B0F0EFA FF01530F
	v_cvt_f32_i32_e32 v136, v136                               // 000000004410: 7F100B88
	v_cvt_f32_i32_e32 v137, v137                               // 000000004414: 7F120B89
	v_cvt_f32_i32_e32 v138, v138                               // 000000004418: 7F140B8A
	v_cvt_f32_i32_e32 v139, v139                               // 00000000441C: 7F160B8B
	v_mul_f32_e32 v136, v13, v136                              // 000000004420: 0B11110D
	v_mul_f32_e32 v137, v13, v137                              // 000000004424: 0B13130D
	v_mul_f32_e32 v138, v13, v138                              // 000000004428: 0B15150D
	v_mul_f32_e32 v139, v13, v139                              // 00000000442C: 0B17170D
	v_mul_f32_dpp v136, v15, v136 row_newbcast:4 row_mask:0xf bank_mask:0xf// 000000004430: 0B1110FA FF01540F
	v_mul_f32_dpp v137, v15, v137 row_newbcast:5 row_mask:0xf bank_mask:0xf// 000000004438: 0B1312FA FF01550F
	v_mul_f32_dpp v138, v15, v138 row_newbcast:6 row_mask:0xf bank_mask:0xf// 000000004440: 0B1514FA FF01560F
	v_mul_f32_dpp v139, v15, v139 row_newbcast:7 row_mask:0xf bank_mask:0xf// 000000004448: 0B1716FA FF01570F
	v_cvt_f32_i32_e32 v140, v140                               // 000000004450: 7F180B8C
	v_cvt_f32_i32_e32 v141, v141                               // 000000004454: 7F1A0B8D
	v_cvt_f32_i32_e32 v142, v142                               // 000000004458: 7F1C0B8E
	v_cvt_f32_i32_e32 v143, v143                               // 00000000445C: 7F1E0B8F
	v_mul_f32_e32 v140, v14, v140                              // 000000004460: 0B19190E
	v_mul_f32_e32 v141, v14, v141                              // 000000004464: 0B1B1B0E
	v_mul_f32_e32 v142, v14, v142                              // 000000004468: 0B1D1D0E
	v_mul_f32_e32 v143, v14, v143                              // 00000000446C: 0B1F1F0E
	v_mul_f32_dpp v140, v15, v140 row_newbcast:4 row_mask:0xf bank_mask:0xf// 000000004470: 0B1918FA FF01540F
	v_mul_f32_dpp v141, v15, v141 row_newbcast:5 row_mask:0xf bank_mask:0xf// 000000004478: 0B1B1AFA FF01550F
	v_mul_f32_dpp v142, v15, v142 row_newbcast:6 row_mask:0xf bank_mask:0xf// 000000004480: 0B1D1CFA FF01560F
	v_mul_f32_dpp v143, v15, v143 row_newbcast:7 row_mask:0xf bank_mask:0xf// 000000004488: 0B1F1EFA FF01570F
	v_cvt_f32_i32_e32 v144, v144                               // 000000004490: 7F200B90
	v_cvt_f32_i32_e32 v145, v145                               // 000000004494: 7F220B91
	v_cvt_f32_i32_e32 v146, v146                               // 000000004498: 7F240B92
	v_cvt_f32_i32_e32 v147, v147                               // 00000000449C: 7F260B93
	v_mul_f32_e32 v144, v13, v144                              // 0000000044A0: 0B21210D
	v_mul_f32_e32 v145, v13, v145                              // 0000000044A4: 0B23230D
	v_mul_f32_e32 v146, v13, v146                              // 0000000044A8: 0B25250D
	v_mul_f32_e32 v147, v13, v147                              // 0000000044AC: 0B27270D
	v_mul_f32_dpp v144, v15, v144 row_newbcast:8 row_mask:0xf bank_mask:0xf// 0000000044B0: 0B2120FA FF01580F
	v_mul_f32_dpp v145, v15, v145 row_newbcast:9 row_mask:0xf bank_mask:0xf// 0000000044B8: 0B2322FA FF01590F
	v_mul_f32_dpp v146, v15, v146 row_newbcast:10 row_mask:0xf bank_mask:0xf// 0000000044C0: 0B2524FA FF015A0F
	v_mul_f32_dpp v147, v15, v147 row_newbcast:11 row_mask:0xf bank_mask:0xf// 0000000044C8: 0B2726FA FF015B0F
	v_cvt_f32_i32_e32 v148, v148                               // 0000000044D0: 7F280B94
	v_cvt_f32_i32_e32 v149, v149                               // 0000000044D4: 7F2A0B95
	v_cvt_f32_i32_e32 v150, v150                               // 0000000044D8: 7F2C0B96
	v_cvt_f32_i32_e32 v151, v151                               // 0000000044DC: 7F2E0B97
	v_mul_f32_e32 v148, v14, v148                              // 0000000044E0: 0B29290E
	v_mul_f32_e32 v149, v14, v149                              // 0000000044E4: 0B2B2B0E
	v_mul_f32_e32 v150, v14, v150                              // 0000000044E8: 0B2D2D0E
	v_mul_f32_e32 v151, v14, v151                              // 0000000044EC: 0B2F2F0E
	v_mul_f32_dpp v148, v15, v148 row_newbcast:8 row_mask:0xf bank_mask:0xf// 0000000044F0: 0B2928FA FF01580F
	v_mul_f32_dpp v149, v15, v149 row_newbcast:9 row_mask:0xf bank_mask:0xf// 0000000044F8: 0B2B2AFA FF01590F
	v_mul_f32_dpp v150, v15, v150 row_newbcast:10 row_mask:0xf bank_mask:0xf// 000000004500: 0B2D2CFA FF015A0F
	v_mul_f32_dpp v151, v15, v151 row_newbcast:11 row_mask:0xf bank_mask:0xf// 000000004508: 0B2F2EFA FF015B0F
	v_cvt_f32_i32_e32 v152, v152                               // 000000004510: 7F300B98
	v_cvt_f32_i32_e32 v153, v153                               // 000000004514: 7F320B99
	v_cvt_f32_i32_e32 v154, v154                               // 000000004518: 7F340B9A
	v_cvt_f32_i32_e32 v155, v155                               // 00000000451C: 7F360B9B
	v_mul_f32_e32 v152, v13, v152                              // 000000004520: 0B31310D
	v_mul_f32_e32 v153, v13, v153                              // 000000004524: 0B33330D
	v_mul_f32_e32 v154, v13, v154                              // 000000004528: 0B35350D
	v_mul_f32_e32 v155, v13, v155                              // 00000000452C: 0B37370D
	v_mul_f32_dpp v152, v15, v152 row_newbcast:12 row_mask:0xf bank_mask:0xf// 000000004530: 0B3130FA FF015C0F
	v_mul_f32_dpp v153, v15, v153 row_newbcast:13 row_mask:0xf bank_mask:0xf// 000000004538: 0B3332FA FF015D0F
	v_mul_f32_dpp v154, v15, v154 row_newbcast:14 row_mask:0xf bank_mask:0xf// 000000004540: 0B3534FA FF015E0F
	v_mul_f32_dpp v155, v15, v155 row_newbcast:15 row_mask:0xf bank_mask:0xf// 000000004548: 0B3736FA FF015F0F
	v_cvt_f32_i32_e32 v156, v156                               // 000000004550: 7F380B9C
	v_cvt_f32_i32_e32 v157, v157                               // 000000004554: 7F3A0B9D
	v_cvt_f32_i32_e32 v158, v158                               // 000000004558: 7F3C0B9E
	v_cvt_f32_i32_e32 v159, v159                               // 00000000455C: 7F3E0B9F
	v_mul_f32_e32 v156, v14, v156                              // 000000004560: 0B39390E
	v_mul_f32_e32 v157, v14, v157                              // 000000004564: 0B3B3B0E
	v_mul_f32_e32 v158, v14, v158                              // 000000004568: 0B3D3D0E
	v_mul_f32_e32 v159, v14, v159                              // 00000000456C: 0B3F3F0E
	v_mul_f32_dpp v156, v15, v156 row_newbcast:12 row_mask:0xf bank_mask:0xf// 000000004570: 0B3938FA FF015C0F
	v_mul_f32_dpp v157, v15, v157 row_newbcast:13 row_mask:0xf bank_mask:0xf// 000000004578: 0B3B3AFA FF015D0F
	v_mul_f32_dpp v158, v15, v158 row_newbcast:14 row_mask:0xf bank_mask:0xf// 000000004580: 0B3D3CFA FF015E0F
	v_mul_f32_dpp v159, v15, v159 row_newbcast:15 row_mask:0xf bank_mask:0xf// 000000004588: 0B3F3EFA FF015F0F
	v_cvt_f32_i32_e32 v64, v64                                 // 000000004590: 7E800B40
	v_cvt_f32_i32_e32 v65, v65                                 // 000000004594: 7E820B41
	v_cvt_f32_i32_e32 v66, v66                                 // 000000004598: 7E840B42
	v_cvt_f32_i32_e32 v67, v67                                 // 00000000459C: 7E860B43
	v_mul_f32_e32 v64, v13, v64                                // 0000000045A0: 0A80810D
	v_mul_f32_e32 v65, v13, v65                                // 0000000045A4: 0A82830D
	v_mul_f32_e32 v66, v13, v66                                // 0000000045A8: 0A84850D
	v_mul_f32_e32 v67, v13, v67                                // 0000000045AC: 0A86870D
	v_mul_f32_dpp v64, v44, v64 row_newbcast:0 row_mask:0xf bank_mask:0xf// 0000000045B0: 0A8080FA FF01502C
	v_mul_f32_dpp v65, v44, v65 row_newbcast:1 row_mask:0xf bank_mask:0xf// 0000000045B8: 0A8282FA FF01512C
	v_mul_f32_dpp v66, v44, v66 row_newbcast:2 row_mask:0xf bank_mask:0xf// 0000000045C0: 0A8484FA FF01522C
	v_mul_f32_dpp v67, v44, v67 row_newbcast:3 row_mask:0xf bank_mask:0xf// 0000000045C8: 0A8686FA FF01532C
	v_cvt_f32_i32_e32 v68, v68                                 // 0000000045D0: 7E880B44
	v_cvt_f32_i32_e32 v69, v69                                 // 0000000045D4: 7E8A0B45
	v_cvt_f32_i32_e32 v70, v70                                 // 0000000045D8: 7E8C0B46
	v_cvt_f32_i32_e32 v71, v71                                 // 0000000045DC: 7E8E0B47
	v_mul_f32_e32 v68, v14, v68                                // 0000000045E0: 0A88890E
	v_mul_f32_e32 v69, v14, v69                                // 0000000045E4: 0A8A8B0E
	v_mul_f32_e32 v70, v14, v70                                // 0000000045E8: 0A8C8D0E
	v_mul_f32_e32 v71, v14, v71                                // 0000000045EC: 0A8E8F0E
	v_mul_f32_dpp v68, v44, v68 row_newbcast:0 row_mask:0xf bank_mask:0xf// 0000000045F0: 0A8888FA FF01502C
	v_mul_f32_dpp v69, v44, v69 row_newbcast:1 row_mask:0xf bank_mask:0xf// 0000000045F8: 0A8A8AFA FF01512C
	v_mul_f32_dpp v70, v44, v70 row_newbcast:2 row_mask:0xf bank_mask:0xf// 000000004600: 0A8C8CFA FF01522C
	v_mul_f32_dpp v71, v44, v71 row_newbcast:3 row_mask:0xf bank_mask:0xf// 000000004608: 0A8E8EFA FF01532C
	v_cvt_f32_i32_e32 v72, v72                                 // 000000004610: 7E900B48
	v_cvt_f32_i32_e32 v73, v73                                 // 000000004614: 7E920B49
	v_cvt_f32_i32_e32 v74, v74                                 // 000000004618: 7E940B4A
	v_cvt_f32_i32_e32 v75, v75                                 // 00000000461C: 7E960B4B
	v_mul_f32_e32 v72, v13, v72                                // 000000004620: 0A90910D
	v_mul_f32_e32 v73, v13, v73                                // 000000004624: 0A92930D
	v_mul_f32_e32 v74, v13, v74                                // 000000004628: 0A94950D
	v_mul_f32_e32 v75, v13, v75                                // 00000000462C: 0A96970D
	v_mul_f32_dpp v72, v44, v72 row_newbcast:4 row_mask:0xf bank_mask:0xf// 000000004630: 0A9090FA FF01542C
	v_mul_f32_dpp v73, v44, v73 row_newbcast:5 row_mask:0xf bank_mask:0xf// 000000004638: 0A9292FA FF01552C
	v_mul_f32_dpp v74, v44, v74 row_newbcast:6 row_mask:0xf bank_mask:0xf// 000000004640: 0A9494FA FF01562C
	v_mul_f32_dpp v75, v44, v75 row_newbcast:7 row_mask:0xf bank_mask:0xf// 000000004648: 0A9696FA FF01572C
	v_cvt_f32_i32_e32 v76, v76                                 // 000000004650: 7E980B4C
	v_cvt_f32_i32_e32 v77, v77                                 // 000000004654: 7E9A0B4D
	v_cvt_f32_i32_e32 v78, v78                                 // 000000004658: 7E9C0B4E
	v_cvt_f32_i32_e32 v79, v79                                 // 00000000465C: 7E9E0B4F
	v_mul_f32_e32 v76, v14, v76                                // 000000004660: 0A98990E
	v_mul_f32_e32 v77, v14, v77                                // 000000004664: 0A9A9B0E
	v_mul_f32_e32 v78, v14, v78                                // 000000004668: 0A9C9D0E
	v_mul_f32_e32 v79, v14, v79                                // 00000000466C: 0A9E9F0E
	v_mul_f32_dpp v76, v44, v76 row_newbcast:4 row_mask:0xf bank_mask:0xf// 000000004670: 0A9898FA FF01542C
	v_mul_f32_dpp v77, v44, v77 row_newbcast:5 row_mask:0xf bank_mask:0xf// 000000004678: 0A9A9AFA FF01552C
	v_mul_f32_dpp v78, v44, v78 row_newbcast:6 row_mask:0xf bank_mask:0xf// 000000004680: 0A9C9CFA FF01562C
	v_mul_f32_dpp v79, v44, v79 row_newbcast:7 row_mask:0xf bank_mask:0xf// 000000004688: 0A9E9EFA FF01572C
	v_cvt_f32_i32_e32 v80, v80                                 // 000000004690: 7EA00B50
	v_cvt_f32_i32_e32 v81, v81                                 // 000000004694: 7EA20B51
	v_cvt_f32_i32_e32 v82, v82                                 // 000000004698: 7EA40B52
	v_cvt_f32_i32_e32 v83, v83                                 // 00000000469C: 7EA60B53
	v_mul_f32_e32 v80, v13, v80                                // 0000000046A0: 0AA0A10D
	v_mul_f32_e32 v81, v13, v81                                // 0000000046A4: 0AA2A30D
	v_mul_f32_e32 v82, v13, v82                                // 0000000046A8: 0AA4A50D
	v_mul_f32_e32 v83, v13, v83                                // 0000000046AC: 0AA6A70D
	v_mul_f32_dpp v80, v44, v80 row_newbcast:8 row_mask:0xf bank_mask:0xf// 0000000046B0: 0AA0A0FA FF01582C
	v_mul_f32_dpp v81, v44, v81 row_newbcast:9 row_mask:0xf bank_mask:0xf// 0000000046B8: 0AA2A2FA FF01592C
	v_mul_f32_dpp v82, v44, v82 row_newbcast:10 row_mask:0xf bank_mask:0xf// 0000000046C0: 0AA4A4FA FF015A2C
	v_mul_f32_dpp v83, v44, v83 row_newbcast:11 row_mask:0xf bank_mask:0xf// 0000000046C8: 0AA6A6FA FF015B2C
	v_cvt_f32_i32_e32 v84, v84                                 // 0000000046D0: 7EA80B54
	v_cvt_f32_i32_e32 v85, v85                                 // 0000000046D4: 7EAA0B55
	v_cvt_f32_i32_e32 v86, v86                                 // 0000000046D8: 7EAC0B56
	v_cvt_f32_i32_e32 v87, v87                                 // 0000000046DC: 7EAE0B57
	v_mul_f32_e32 v84, v14, v84                                // 0000000046E0: 0AA8A90E
	v_mul_f32_e32 v85, v14, v85                                // 0000000046E4: 0AAAAB0E
	v_mul_f32_e32 v86, v14, v86                                // 0000000046E8: 0AACAD0E
	v_mul_f32_e32 v87, v14, v87                                // 0000000046EC: 0AAEAF0E
	v_mul_f32_dpp v84, v44, v84 row_newbcast:8 row_mask:0xf bank_mask:0xf// 0000000046F0: 0AA8A8FA FF01582C
	v_mul_f32_dpp v85, v44, v85 row_newbcast:9 row_mask:0xf bank_mask:0xf// 0000000046F8: 0AAAAAFA FF01592C
	v_mul_f32_dpp v86, v44, v86 row_newbcast:10 row_mask:0xf bank_mask:0xf// 000000004700: 0AACACFA FF015A2C
	v_mul_f32_dpp v87, v44, v87 row_newbcast:11 row_mask:0xf bank_mask:0xf// 000000004708: 0AAEAEFA FF015B2C
	v_cvt_f32_i32_e32 v88, v88                                 // 000000004710: 7EB00B58
	v_cvt_f32_i32_e32 v89, v89                                 // 000000004714: 7EB20B59
	v_cvt_f32_i32_e32 v90, v90                                 // 000000004718: 7EB40B5A
	v_cvt_f32_i32_e32 v91, v91                                 // 00000000471C: 7EB60B5B
	v_mul_f32_e32 v88, v13, v88                                // 000000004720: 0AB0B10D
	v_mul_f32_e32 v89, v13, v89                                // 000000004724: 0AB2B30D
	v_mul_f32_e32 v90, v13, v90                                // 000000004728: 0AB4B50D
	v_mul_f32_e32 v91, v13, v91                                // 00000000472C: 0AB6B70D
	v_mul_f32_dpp v88, v44, v88 row_newbcast:12 row_mask:0xf bank_mask:0xf// 000000004730: 0AB0B0FA FF015C2C
	v_mul_f32_dpp v89, v44, v89 row_newbcast:13 row_mask:0xf bank_mask:0xf// 000000004738: 0AB2B2FA FF015D2C
	v_mul_f32_dpp v90, v44, v90 row_newbcast:14 row_mask:0xf bank_mask:0xf// 000000004740: 0AB4B4FA FF015E2C
	v_mul_f32_dpp v91, v44, v91 row_newbcast:15 row_mask:0xf bank_mask:0xf// 000000004748: 0AB6B6FA FF015F2C
	v_cvt_f32_i32_e32 v92, v92                                 // 000000004750: 7EB80B5C
	v_cvt_f32_i32_e32 v93, v93                                 // 000000004754: 7EBA0B5D
	v_cvt_f32_i32_e32 v94, v94                                 // 000000004758: 7EBC0B5E
	v_cvt_f32_i32_e32 v95, v95                                 // 00000000475C: 7EBE0B5F
	v_mul_f32_e32 v92, v14, v92                                // 000000004760: 0AB8B90E
	v_mul_f32_e32 v93, v14, v93                                // 000000004764: 0ABABB0E
	v_mul_f32_e32 v94, v14, v94                                // 000000004768: 0ABCBD0E
	v_mul_f32_e32 v95, v14, v95                                // 00000000476C: 0ABEBF0E
	v_mul_f32_dpp v92, v44, v92 row_newbcast:12 row_mask:0xf bank_mask:0xf// 000000004770: 0AB8B8FA FF015C2C
	v_mul_f32_dpp v93, v44, v93 row_newbcast:13 row_mask:0xf bank_mask:0xf// 000000004778: 0ABABAFA FF015D2C
	v_mul_f32_dpp v94, v44, v94 row_newbcast:14 row_mask:0xf bank_mask:0xf// 000000004780: 0ABCBCFA FF015E2C
	v_mul_f32_dpp v95, v44, v95 row_newbcast:15 row_mask:0xf bank_mask:0xf// 000000004788: 0ABEBEFA FF015F2C
	s_waitcnt vmcnt(12)                                        // 000000004790: BF8C0F7C
	buffer_load_dwordx4 a[0:3], v36, s[12:15], 0 offen         // 000000004794: E05C1000 80830024
	v_mul_f32_e64 v46, -v128, s6                               // 00000000479C: D105002E 20000D80
	v_mul_f32_e64 v47, -v129, s6                               // 0000000047A4: D105002F 20000D81
	v_mul_f32_e64 v48, -v130, s6                               // 0000000047AC: D1050030 20000D82
	v_mul_f32_e64 v49, -v131, s6                               // 0000000047B4: D1050031 20000D83
	v_exp_f32_e32 v46, v46                                     // 0000000047BC: 7E5C412E
	v_exp_f32_e32 v47, v47                                     // 0000000047C0: 7E5E412F
	v_exp_f32_e32 v48, v48                                     // 0000000047C4: 7E604130
	v_exp_f32_e32 v49, v49                                     // 0000000047C8: 7E624131
	buffer_load_dwordx4 a[4:7], v37, s[12:15], 0 offen         // 0000000047CC: E05C1000 80830425
	v_add_f32_e64 v46, v46, 1.0                                // 0000000047D4: D101002E 0001E52E
	v_add_f32_e64 v47, v47, 1.0                                // 0000000047DC: D101002F 0001E52F
	v_add_f32_e64 v48, v48, 1.0                                // 0000000047E4: D1010030 0001E530
	v_add_f32_e64 v49, v49, 1.0                                // 0000000047EC: D1010031 0001E531
	v_rcp_f32_e32 v46, v46                                     // 0000000047F4: 7E5C452E
	v_rcp_f32_e32 v47, v47                                     // 0000000047F8: 7E5E452F
	v_rcp_f32_e32 v48, v48                                     // 0000000047FC: 7E604530
	v_rcp_f32_e32 v49, v49                                     // 000000004800: 7E624531
	v_mul_f32_e32 v128, v128, v46                              // 000000004804: 0B005D80
	v_mul_f32_e32 v129, v129, v47                              // 000000004808: 0B025F81
	v_mul_f32_e32 v130, v130, v48                              // 00000000480C: 0B046182
	v_mul_f32_e32 v131, v131, v49                              // 000000004810: 0B066383
	v_mul_f32_e32 v128, v128, v64                              // 000000004814: 0B008180
	v_mul_f32_e32 v129, v129, v65                              // 000000004818: 0B028381
	v_mul_f32_e32 v130, v130, v66                              // 00000000481C: 0B048582
	v_mul_f32_e32 v131, v131, v67                              // 000000004820: 0B068783
	buffer_load_dwordx4 a[8:11], v38, s[12:15], 0 offen        // 000000004824: E05C1000 80830826
	v_mul_f32_e64 v46, -v132, s6                               // 00000000482C: D105002E 20000D84
	v_mul_f32_e64 v47, -v133, s6                               // 000000004834: D105002F 20000D85
	v_mul_f32_e64 v48, -v134, s6                               // 00000000483C: D1050030 20000D86
	v_mul_f32_e64 v49, -v135, s6                               // 000000004844: D1050031 20000D87
	v_exp_f32_e32 v46, v46                                     // 00000000484C: 7E5C412E
	v_exp_f32_e32 v47, v47                                     // 000000004850: 7E5E412F
	v_exp_f32_e32 v48, v48                                     // 000000004854: 7E604130
	v_exp_f32_e32 v49, v49                                     // 000000004858: 7E624131
	buffer_load_dwordx4 a[12:15], v39, s[12:15], 0 offen       // 00000000485C: E05C1000 80830C27
	s_add_u32 s12, s78, s12                                    // 000000004864: 800C0C4E
	s_addc_u32 s13, 0, s13                                     // 000000004868: 820D0D80
	v_add_f32_e64 v46, v46, 1.0                                // 00000000486C: D101002E 0001E52E
	v_add_f32_e64 v47, v47, 1.0                                // 000000004874: D101002F 0001E52F
	v_add_f32_e64 v48, v48, 1.0                                // 00000000487C: D1010030 0001E530
	v_add_f32_e64 v49, v49, 1.0                                // 000000004884: D1010031 0001E531
	v_rcp_f32_e32 v46, v46                                     // 00000000488C: 7E5C452E
	v_rcp_f32_e32 v47, v47                                     // 000000004890: 7E5E452F
	v_rcp_f32_e32 v48, v48                                     // 000000004894: 7E604530
	v_rcp_f32_e32 v49, v49                                     // 000000004898: 7E624531
	v_mul_f32_e32 v132, v132, v46                              // 00000000489C: 0B085D84
	v_mul_f32_e32 v133, v133, v47                              // 0000000048A0: 0B0A5F85
	v_mul_f32_e32 v134, v134, v48                              // 0000000048A4: 0B0C6186
	v_mul_f32_e32 v135, v135, v49                              // 0000000048A8: 0B0E6387
	v_mul_f32_e32 v132, v132, v68                              // 0000000048AC: 0B088984
	v_mul_f32_e32 v133, v133, v69                              // 0000000048B0: 0B0A8B85
	v_mul_f32_e32 v134, v134, v70                              // 0000000048B4: 0B0C8D86
	v_mul_f32_e32 v135, v135, v71                              // 0000000048B8: 0B0E8F87
	s_waitcnt vmcnt(12)                                        // 0000000048BC: BF8C0F7C
	buffer_load_dwordx4 a[16:19], v36, s[12:15], 0 offen       // 0000000048C0: E05C1000 80831024
	v_mul_f32_e64 v46, -v136, s6                               // 0000000048C8: D105002E 20000D88
	v_mul_f32_e64 v47, -v137, s6                               // 0000000048D0: D105002F 20000D89
	v_mul_f32_e64 v48, -v138, s6                               // 0000000048D8: D1050030 20000D8A
	v_mul_f32_e64 v49, -v139, s6                               // 0000000048E0: D1050031 20000D8B
	v_exp_f32_e32 v46, v46                                     // 0000000048E8: 7E5C412E
	v_exp_f32_e32 v47, v47                                     // 0000000048EC: 7E5E412F
	v_exp_f32_e32 v48, v48                                     // 0000000048F0: 7E604130
	v_exp_f32_e32 v49, v49                                     // 0000000048F4: 7E624131
	buffer_load_dwordx4 a[20:23], v37, s[12:15], 0 offen       // 0000000048F8: E05C1000 80831425
	v_add_f32_e64 v46, v46, 1.0                                // 000000004900: D101002E 0001E52E
	v_add_f32_e64 v47, v47, 1.0                                // 000000004908: D101002F 0001E52F
	v_add_f32_e64 v48, v48, 1.0                                // 000000004910: D1010030 0001E530
	v_add_f32_e64 v49, v49, 1.0                                // 000000004918: D1010031 0001E531
	v_rcp_f32_e32 v46, v46                                     // 000000004920: 7E5C452E
	v_rcp_f32_e32 v47, v47                                     // 000000004924: 7E5E452F
	v_rcp_f32_e32 v48, v48                                     // 000000004928: 7E604530
	v_rcp_f32_e32 v49, v49                                     // 00000000492C: 7E624531
	v_mul_f32_e32 v136, v136, v46                              // 000000004930: 0B105D88
	v_mul_f32_e32 v137, v137, v47                              // 000000004934: 0B125F89
	v_mul_f32_e32 v138, v138, v48                              // 000000004938: 0B14618A
	v_mul_f32_e32 v139, v139, v49                              // 00000000493C: 0B16638B
	v_mul_f32_e32 v136, v136, v72                              // 000000004940: 0B109188
	v_mul_f32_e32 v137, v137, v73                              // 000000004944: 0B129389
	v_mul_f32_e32 v138, v138, v74                              // 000000004948: 0B14958A
	v_mul_f32_e32 v139, v139, v75                              // 00000000494C: 0B16978B
	buffer_load_dwordx4 a[24:27], v38, s[12:15], 0 offen       // 000000004950: E05C1000 80831826
	v_mul_f32_e64 v46, -v140, s6                               // 000000004958: D105002E 20000D8C
	v_mul_f32_e64 v47, -v141, s6                               // 000000004960: D105002F 20000D8D
	v_mul_f32_e64 v48, -v142, s6                               // 000000004968: D1050030 20000D8E
	v_mul_f32_e64 v49, -v143, s6                               // 000000004970: D1050031 20000D8F
	v_exp_f32_e32 v46, v46                                     // 000000004978: 7E5C412E
	v_exp_f32_e32 v47, v47                                     // 00000000497C: 7E5E412F
	v_exp_f32_e32 v48, v48                                     // 000000004980: 7E604130
	v_exp_f32_e32 v49, v49                                     // 000000004984: 7E624131
	buffer_load_dwordx4 a[28:31], v39, s[12:15], 0 offen       // 000000004988: E05C1000 80831C27
	s_add_u32 s12, s78, s12                                    // 000000004990: 800C0C4E
	s_addc_u32 s13, 0, s13                                     // 000000004994: 820D0D80
	v_add_f32_e64 v46, v46, 1.0                                // 000000004998: D101002E 0001E52E
	v_add_f32_e64 v47, v47, 1.0                                // 0000000049A0: D101002F 0001E52F
	v_add_f32_e64 v48, v48, 1.0                                // 0000000049A8: D1010030 0001E530
	v_add_f32_e64 v49, v49, 1.0                                // 0000000049B0: D1010031 0001E531
	v_rcp_f32_e32 v46, v46                                     // 0000000049B8: 7E5C452E
	v_rcp_f32_e32 v47, v47                                     // 0000000049BC: 7E5E452F
	v_rcp_f32_e32 v48, v48                                     // 0000000049C0: 7E604530
	v_rcp_f32_e32 v49, v49                                     // 0000000049C4: 7E624531
	v_mul_f32_e32 v140, v140, v46                              // 0000000049C8: 0B185D8C
	v_mul_f32_e32 v141, v141, v47                              // 0000000049CC: 0B1A5F8D
	v_mul_f32_e32 v142, v142, v48                              // 0000000049D0: 0B1C618E
	v_mul_f32_e32 v143, v143, v49                              // 0000000049D4: 0B1E638F
	v_mul_f32_e32 v140, v140, v76                              // 0000000049D8: 0B18998C
	v_mul_f32_e32 v141, v141, v77                              // 0000000049DC: 0B1A9B8D
	v_mul_f32_e32 v142, v142, v78                              // 0000000049E0: 0B1C9D8E
	v_mul_f32_e32 v143, v143, v79                              // 0000000049E4: 0B1E9F8F
	s_waitcnt vmcnt(12)                                        // 0000000049E8: BF8C0F7C
	buffer_load_dwordx4 a[32:35], v36, s[12:15], 0 offen       // 0000000049EC: E05C1000 80832024
	v_mul_f32_e64 v46, -v144, s6                               // 0000000049F4: D105002E 20000D90
	v_mul_f32_e64 v47, -v145, s6                               // 0000000049FC: D105002F 20000D91
	v_mul_f32_e64 v48, -v146, s6                               // 000000004A04: D1050030 20000D92
	v_mul_f32_e64 v49, -v147, s6                               // 000000004A0C: D1050031 20000D93
	v_exp_f32_e32 v46, v46                                     // 000000004A14: 7E5C412E
	v_exp_f32_e32 v47, v47                                     // 000000004A18: 7E5E412F
	v_exp_f32_e32 v48, v48                                     // 000000004A1C: 7E604130
	v_exp_f32_e32 v49, v49                                     // 000000004A20: 7E624131
	buffer_load_dwordx4 a[36:39], v37, s[12:15], 0 offen       // 000000004A24: E05C1000 80832425
	v_add_f32_e64 v46, v46, 1.0                                // 000000004A2C: D101002E 0001E52E
	v_add_f32_e64 v47, v47, 1.0                                // 000000004A34: D101002F 0001E52F
	v_add_f32_e64 v48, v48, 1.0                                // 000000004A3C: D1010030 0001E530
	v_add_f32_e64 v49, v49, 1.0                                // 000000004A44: D1010031 0001E531
	v_rcp_f32_e32 v46, v46                                     // 000000004A4C: 7E5C452E
	v_rcp_f32_e32 v47, v47                                     // 000000004A50: 7E5E452F
	v_rcp_f32_e32 v48, v48                                     // 000000004A54: 7E604530
	v_rcp_f32_e32 v49, v49                                     // 000000004A58: 7E624531
	v_mul_f32_e32 v144, v144, v46                              // 000000004A5C: 0B205D90
	v_mul_f32_e32 v145, v145, v47                              // 000000004A60: 0B225F91
	v_mul_f32_e32 v146, v146, v48                              // 000000004A64: 0B246192
	v_mul_f32_e32 v147, v147, v49                              // 000000004A68: 0B266393
	v_mul_f32_e32 v144, v144, v80                              // 000000004A6C: 0B20A190
	v_mul_f32_e32 v145, v145, v81                              // 000000004A70: 0B22A391
	v_mul_f32_e32 v146, v146, v82                              // 000000004A74: 0B24A592
	v_mul_f32_e32 v147, v147, v83                              // 000000004A78: 0B26A793
	buffer_load_dwordx4 a[40:43], v38, s[12:15], 0 offen       // 000000004A7C: E05C1000 80832826
	v_mul_f32_e64 v46, -v148, s6                               // 000000004A84: D105002E 20000D94
	v_mul_f32_e64 v47, -v149, s6                               // 000000004A8C: D105002F 20000D95
	v_mul_f32_e64 v48, -v150, s6                               // 000000004A94: D1050030 20000D96
	v_mul_f32_e64 v49, -v151, s6                               // 000000004A9C: D1050031 20000D97
	v_exp_f32_e32 v46, v46                                     // 000000004AA4: 7E5C412E
	v_exp_f32_e32 v47, v47                                     // 000000004AA8: 7E5E412F
	v_exp_f32_e32 v48, v48                                     // 000000004AAC: 7E604130
	v_exp_f32_e32 v49, v49                                     // 000000004AB0: 7E624131
	buffer_load_dwordx4 a[44:47], v39, s[12:15], 0 offen       // 000000004AB4: E05C1000 80832C27
	s_add_u32 s12, s78, s12                                    // 000000004ABC: 800C0C4E
	s_addc_u32 s13, 0, s13                                     // 000000004AC0: 820D0D80
	v_add_f32_e64 v46, v46, 1.0                                // 000000004AC4: D101002E 0001E52E
	v_add_f32_e64 v47, v47, 1.0                                // 000000004ACC: D101002F 0001E52F
	v_add_f32_e64 v48, v48, 1.0                                // 000000004AD4: D1010030 0001E530
	v_add_f32_e64 v49, v49, 1.0                                // 000000004ADC: D1010031 0001E531
	v_rcp_f32_e32 v46, v46                                     // 000000004AE4: 7E5C452E
	v_rcp_f32_e32 v47, v47                                     // 000000004AE8: 7E5E452F
	v_rcp_f32_e32 v48, v48                                     // 000000004AEC: 7E604530
	v_rcp_f32_e32 v49, v49                                     // 000000004AF0: 7E624531
	v_mul_f32_e32 v148, v148, v46                              // 000000004AF4: 0B285D94
	v_mul_f32_e32 v149, v149, v47                              // 000000004AF8: 0B2A5F95
	v_mul_f32_e32 v150, v150, v48                              // 000000004AFC: 0B2C6196
	v_mul_f32_e32 v151, v151, v49                              // 000000004B00: 0B2E6397
	v_mul_f32_e32 v148, v148, v84                              // 000000004B04: 0B28A994
	v_mul_f32_e32 v149, v149, v85                              // 000000004B08: 0B2AAB95
	v_mul_f32_e32 v150, v150, v86                              // 000000004B0C: 0B2CAD96
	v_mul_f32_e32 v151, v151, v87                              // 000000004B10: 0B2EAF97
	s_waitcnt vmcnt(12)                                        // 000000004B14: BF8C0F7C
	buffer_load_dwordx4 a[48:51], v36, s[12:15], 0 offen       // 000000004B18: E05C1000 80833024
	v_mul_f32_e64 v46, -v152, s6                               // 000000004B20: D105002E 20000D98
	v_mul_f32_e64 v47, -v153, s6                               // 000000004B28: D105002F 20000D99
	v_mul_f32_e64 v48, -v154, s6                               // 000000004B30: D1050030 20000D9A
	v_mul_f32_e64 v49, -v155, s6                               // 000000004B38: D1050031 20000D9B
	v_exp_f32_e32 v46, v46                                     // 000000004B40: 7E5C412E
	v_exp_f32_e32 v47, v47                                     // 000000004B44: 7E5E412F
	v_exp_f32_e32 v48, v48                                     // 000000004B48: 7E604130
	v_exp_f32_e32 v49, v49                                     // 000000004B4C: 7E624131
	buffer_load_dwordx4 a[52:55], v37, s[12:15], 0 offen       // 000000004B50: E05C1000 80833425
	v_add_f32_e64 v46, v46, 1.0                                // 000000004B58: D101002E 0001E52E
	v_add_f32_e64 v47, v47, 1.0                                // 000000004B60: D101002F 0001E52F
	v_add_f32_e64 v48, v48, 1.0                                // 000000004B68: D1010030 0001E530
	v_add_f32_e64 v49, v49, 1.0                                // 000000004B70: D1010031 0001E531
	v_rcp_f32_e32 v46, v46                                     // 000000004B78: 7E5C452E
	v_rcp_f32_e32 v47, v47                                     // 000000004B7C: 7E5E452F
	v_rcp_f32_e32 v48, v48                                     // 000000004B80: 7E604530
	v_rcp_f32_e32 v49, v49                                     // 000000004B84: 7E624531
	v_mul_f32_e32 v152, v152, v46                              // 000000004B88: 0B305D98
	v_mul_f32_e32 v153, v153, v47                              // 000000004B8C: 0B325F99
	v_mul_f32_e32 v154, v154, v48                              // 000000004B90: 0B34619A
	v_mul_f32_e32 v155, v155, v49                              // 000000004B94: 0B36639B
	v_mul_f32_e32 v152, v152, v88                              // 000000004B98: 0B30B198
	v_mul_f32_e32 v153, v153, v89                              // 000000004B9C: 0B32B399
	v_mul_f32_e32 v154, v154, v90                              // 000000004BA0: 0B34B59A
	v_mul_f32_e32 v155, v155, v91                              // 000000004BA4: 0B36B79B
	buffer_load_dwordx4 a[56:59], v38, s[12:15], 0 offen       // 000000004BA8: E05C1000 80833826
	v_mul_f32_e64 v46, -v156, s6                               // 000000004BB0: D105002E 20000D9C
	v_mul_f32_e64 v47, -v157, s6                               // 000000004BB8: D105002F 20000D9D
	v_mul_f32_e64 v48, -v158, s6                               // 000000004BC0: D1050030 20000D9E
	v_mul_f32_e64 v49, -v159, s6                               // 000000004BC8: D1050031 20000D9F
	v_exp_f32_e32 v46, v46                                     // 000000004BD0: 7E5C412E
	v_exp_f32_e32 v47, v47                                     // 000000004BD4: 7E5E412F
	v_exp_f32_e32 v48, v48                                     // 000000004BD8: 7E604130
	v_exp_f32_e32 v49, v49                                     // 000000004BDC: 7E624131
	buffer_load_dwordx4 a[60:63], v39, s[12:15], 0 offen       // 000000004BE0: E05C1000 80833C27
	v_add_f32_e64 v46, v46, 1.0                                // 000000004BE8: D101002E 0001E52E
	v_add_f32_e64 v47, v47, 1.0                                // 000000004BF0: D101002F 0001E52F
	v_add_f32_e64 v48, v48, 1.0                                // 000000004BF8: D1010030 0001E530
	v_add_f32_e64 v49, v49, 1.0                                // 000000004C00: D1010031 0001E531
	v_rcp_f32_e32 v46, v46                                     // 000000004C08: 7E5C452E
	v_rcp_f32_e32 v47, v47                                     // 000000004C0C: 7E5E452F
	v_rcp_f32_e32 v48, v48                                     // 000000004C10: 7E604530
	v_rcp_f32_e32 v49, v49                                     // 000000004C14: 7E624531
	v_mul_f32_e32 v156, v156, v46                              // 000000004C18: 0B385D9C
	v_mul_f32_e32 v157, v157, v47                              // 000000004C1C: 0B3A5F9D
	v_mul_f32_e32 v158, v158, v48                              // 000000004C20: 0B3C619E
	v_mul_f32_e32 v159, v159, v49                              // 000000004C24: 0B3E639F
	v_mul_f32_e32 v156, v156, v92                              // 000000004C28: 0B38B99C
	v_mul_f32_e32 v157, v157, v93                              // 000000004C2C: 0B3ABB9D
	v_mul_f32_e32 v158, v158, v94                              // 000000004C30: 0B3CBD9E
	v_mul_f32_e32 v159, v159, v95                              // 000000004C34: 0B3EBF9F
	v_lshlrev_b32_e32 v46, 2, v0                               // 000000004C38: 245C0082
	s_mul_i32 s60, s82, s71                                    // 000000004C3C: 923C4752
	v_add_u32_e64 v80, v46, s60                                // 000000004C40: D1340050 0000792E
	v_mov_b32_e32 v81, 0                                       // 000000004C48: 7EA20280
	s_mul_i32 s60, s83, s71                                    // 000000004C4C: 923C4753
	v_add_u32_e64 v82, v46, s60                                // 000000004C50: D1340052 0000792E
	v_mov_b32_e32 v83, 0                                       // 000000004C58: 7EA60280
	s_mul_i32 s60, s84, s71                                    // 000000004C5C: 923C4754
	v_add_u32_e64 v84, v46, s60                                // 000000004C60: D1340054 0000792E
	v_mov_b32_e32 v85, 0                                       // 000000004C68: 7EAA0280
	s_mul_i32 s60, s85, s71                                    // 000000004C6C: 923C4755
	v_add_u32_e64 v86, v46, s60                                // 000000004C70: D1340056 0000792E
	v_mov_b32_e32 v87, 0                                       // 000000004C78: 7EAE0280
	s_mul_i32 s60, s86, s71                                    // 000000004C7C: 923C4756
	v_add_u32_e64 v88, v46, s60                                // 000000004C80: D1340058 0000792E
	v_mov_b32_e32 v89, 0                                       // 000000004C88: 7EB20280
	s_mul_i32 s60, s87, s71                                    // 000000004C8C: 923C4757
	v_add_u32_e64 v90, v46, s60                                // 000000004C90: D134005A 0000792E
	v_mov_b32_e32 v91, 0                                       // 000000004C98: 7EB60280
	s_mul_i32 s60, s88, s71                                    // 000000004C9C: 923C4758
	v_add_u32_e64 v92, v46, s60                                // 000000004CA0: D134005C 0000792E
	v_mov_b32_e32 v93, 0                                       // 000000004CA8: 7EBA0280
	s_mul_i32 s60, s89, s71                                    // 000000004CAC: 923C4759
	v_add_u32_e64 v94, v46, s60                                // 000000004CB0: D134005E 0000792E
	v_mov_b32_e32 v95, 0                                       // 000000004CB8: 7EBE0280
	buffer_load_dword v11, v5, s[16:19], 0 offen               // 000000004CBC: E0501000 80040B05
	v_mov_b32_e32 v20, 0x358637bd                              // 000000004CC4: 7E2802FF 358637BD
	v_mov_b32_e32 v21, 0x358637bd                              // 000000004CCC: 7E2A02FF 358637BD
	v_max3_f32 v20, |v128|, |v129|, v20                        // 000000004CD4: D1D30314 04530380
	v_max3_f32 v20, |v130|, |v131|, v20                        // 000000004CDC: D1D30314 04530782
	v_max3_f32 v21, |v132|, |v133|, v21                        // 000000004CE4: D1D30315 04570B84
	v_max3_f32 v21, |v134|, |v135|, v21                        // 000000004CEC: D1D30315 04570F86
	v_max3_f32 v20, |v136|, |v137|, v20                        // 000000004CF4: D1D30314 04531388
	v_max3_f32 v20, |v138|, |v139|, v20                        // 000000004CFC: D1D30314 0453178A
	v_max3_f32 v21, |v140|, |v141|, v21                        // 000000004D04: D1D30315 04571B8C
	v_max3_f32 v21, |v142|, |v143|, v21                        // 000000004D0C: D1D30315 04571F8E
	v_max3_f32 v20, |v144|, |v145|, v20                        // 000000004D14: D1D30314 04532390
	v_max3_f32 v20, |v146|, |v147|, v20                        // 000000004D1C: D1D30314 04532792
	v_max3_f32 v21, |v148|, |v149|, v21                        // 000000004D24: D1D30315 04572B94
	v_max3_f32 v21, |v150|, |v151|, v21                        // 000000004D2C: D1D30315 04572F96
	v_max3_f32 v20, |v152|, |v153|, v20                        // 000000004D34: D1D30314 04533398
	v_max3_f32 v20, |v154|, |v155|, v20                        // 000000004D3C: D1D30314 0453379A
	v_max3_f32 v21, |v156|, |v157|, v21                        // 000000004D44: D1D30315 04573B9C
	v_max3_f32 v21, |v158|, |v159|, v21                        // 000000004D4C: D1D30315 04573F9E
	v_lshlrev_b32_e32 v46, 3, v0                               // 000000004D54: 245C0083
	s_mul_i32 s60, 0x200, s7                                   // 000000004D58: 923C07FF 00000200
	v_add_u32_e32 v46, s60, v46                                // 000000004D60: 685C5C3C
	ds_write_b64 v46, v[20:21] offset:16640                    // 000000004D64: D89A4100 0000142E
	s_waitcnt lgkmcnt(0)                                       // 000000004D6C: BF8CC07F
	s_barrier                                                  // 000000004D70: BF8A0000
	v_and_b32_e32 v46, 15, v0                                  // 000000004D74: 265C008F
	v_lshlrev_b32_e32 v46, 3, v46                              // 000000004D78: 245C5C83
	ds_read_b64 v[96:97], v46 offset:16640                     // 000000004D7C: D8EC4100 6000002E
	ds_read_b64 v[98:99], v46 offset:16768                     // 000000004D84: D8EC4180 6200002E
	ds_read_b64 v[100:101], v46 offset:16896                   // 000000004D8C: D8EC4200 6400002E
	ds_read_b64 v[102:103], v46 offset:17024                   // 000000004D94: D8EC4280 6600002E
	ds_read_b64 v[104:105], v46 offset:17152                   // 000000004D9C: D8EC4300 6800002E
	ds_read_b64 v[106:107], v46 offset:17280                   // 000000004DA4: D8EC4380 6A00002E
	ds_read_b64 v[108:109], v46 offset:17408                   // 000000004DAC: D8EC4400 6C00002E
	ds_read_b64 v[110:111], v46 offset:17536                   // 000000004DB4: D8EC4480 6E00002E
	ds_read_b64 v[112:113], v46 offset:17664                   // 000000004DBC: D8EC4500 7000002E
	ds_read_b64 v[114:115], v46 offset:17792                   // 000000004DC4: D8EC4580 7200002E
	ds_read_b64 v[116:117], v46 offset:17920                   // 000000004DCC: D8EC4600 7400002E
	ds_read_b64 v[118:119], v46 offset:18048                   // 000000004DD4: D8EC4680 7600002E
	ds_read_b64 v[120:121], v46 offset:18176                   // 000000004DDC: D8EC4700 7800002E
	ds_read_b64 v[122:123], v46 offset:18304                   // 000000004DE4: D8EC4780 7A00002E
	ds_read_b64 v[124:125], v46 offset:18432                   // 000000004DEC: D8EC4800 7C00002E
	ds_read_b64 v[126:127], v46 offset:18560                   // 000000004DF4: D8EC4880 7E00002E
	s_waitcnt lgkmcnt(0)                                       // 000000004DFC: BF8CC07F
	v_max3_f32 v20, |v96|, |v98|, v20                          // 000000004E00: D1D30314 0452C560
	v_max3_f32 v21, |v97|, |v99|, v21                          // 000000004E08: D1D30315 0456C761
	v_max3_f32 v20, |v100|, |v102|, v20                        // 000000004E10: D1D30314 0452CD64
	v_max3_f32 v21, |v101|, |v103|, v21                        // 000000004E18: D1D30315 0456CF65
	v_max3_f32 v20, |v104|, |v106|, v20                        // 000000004E20: D1D30314 0452D568
	v_max3_f32 v21, |v105|, |v107|, v21                        // 000000004E28: D1D30315 0456D769
	v_max3_f32 v20, |v108|, |v110|, v20                        // 000000004E30: D1D30314 0452DD6C
	v_max3_f32 v21, |v109|, |v111|, v21                        // 000000004E38: D1D30315 0456DF6D
	v_max3_f32 v20, |v112|, |v114|, v20                        // 000000004E40: D1D30314 0452E570
	v_max3_f32 v21, |v113|, |v115|, v21                        // 000000004E48: D1D30315 0456E771
	v_max3_f32 v20, |v116|, |v118|, v20                        // 000000004E50: D1D30314 0452ED74
	v_max3_f32 v21, |v117|, |v119|, v21                        // 000000004E58: D1D30315 0456EF75
	v_max3_f32 v20, |v120|, |v122|, v20                        // 000000004E60: D1D30314 0452F578
	v_max3_f32 v21, |v121|, |v123|, v21                        // 000000004E68: D1D30315 0456F779
	v_max3_f32 v20, |v124|, |v126|, v20                        // 000000004E70: D1D30314 0452FD7C
	v_max3_f32 v21, |v125|, |v127|, v21                        // 000000004E78: D1D30315 0456FF7D
	v_rcp_f32_e32 v20, v20                                     // 000000004E80: 7E284514
	v_rcp_f32_e32 v21, v21                                     // 000000004E84: 7E2A4515
	v_mul_f32_e32 v20, 0x42fe0000, v20                         // 000000004E88: 0A2828FF 42FE0000
	v_mul_f32_e32 v21, 0x42fe0000, v21                         // 000000004E90: 0A2A2AFF 42FE0000
	v_mul_f32_e32 v128, v20, v128                              // 000000004E98: 0B010114
	v_mul_f32_e32 v129, v20, v129                              // 000000004E9C: 0B030314
	v_mul_f32_e32 v130, v20, v130                              // 000000004EA0: 0B050514
	v_mul_f32_e32 v131, v20, v131                              // 000000004EA4: 0B070714
	v_cvt_i32_f32_e32 v128, v128                               // 000000004EA8: 7F001180
	v_cvt_i32_f32_e32 v129, v129                               // 000000004EAC: 7F021181
	v_cvt_i32_f32_e32 v130, v130                               // 000000004EB0: 7F041182
	v_cvt_i32_f32_e32 v131, v131                               // 000000004EB4: 7F061183
	v_perm_b32 v128, v129, v128, s53                           // 000000004EB8: D1ED0080 00D70181
	v_perm_b32 v128, v130, v128, s54                           // 000000004EC0: D1ED0080 00DB0182
	v_perm_b32 v128, v131, v128, s55                           // 000000004EC8: D1ED0080 00DF0183
	v_mul_f32_e32 v132, v21, v132                              // 000000004ED0: 0B090915
	v_mul_f32_e32 v133, v21, v133                              // 000000004ED4: 0B0B0B15
	v_mul_f32_e32 v134, v21, v134                              // 000000004ED8: 0B0D0D15
	v_mul_f32_e32 v135, v21, v135                              // 000000004EDC: 0B0F0F15
	v_cvt_i32_f32_e32 v132, v132                               // 000000004EE0: 7F081184
	v_cvt_i32_f32_e32 v133, v133                               // 000000004EE4: 7F0A1185
	v_cvt_i32_f32_e32 v134, v134                               // 000000004EE8: 7F0C1186
	v_cvt_i32_f32_e32 v135, v135                               // 000000004EEC: 7F0E1187
	v_perm_b32 v129, v133, v132, s53                           // 000000004EF0: D1ED0081 00D70985
	v_perm_b32 v129, v134, v129, s54                           // 000000004EF8: D1ED0081 00DB0386
	v_perm_b32 v129, v135, v129, s55                           // 000000004F00: D1ED0081 00DF0387
	v_mul_f32_e32 v136, v20, v136                              // 000000004F08: 0B111114
	v_mul_f32_e32 v137, v20, v137                              // 000000004F0C: 0B131314
	v_mul_f32_e32 v138, v20, v138                              // 000000004F10: 0B151514
	v_mul_f32_e32 v139, v20, v139                              // 000000004F14: 0B171714
	v_cvt_i32_f32_e32 v136, v136                               // 000000004F18: 7F101188
	v_cvt_i32_f32_e32 v137, v137                               // 000000004F1C: 7F121189
	v_cvt_i32_f32_e32 v138, v138                               // 000000004F20: 7F14118A
	v_cvt_i32_f32_e32 v139, v139                               // 000000004F24: 7F16118B
	v_perm_b32 v130, v137, v136, s53                           // 000000004F28: D1ED0082 00D71189
	v_perm_b32 v130, v138, v130, s54                           // 000000004F30: D1ED0082 00DB058A
	v_perm_b32 v130, v139, v130, s55                           // 000000004F38: D1ED0082 00DF058B
	v_mul_f32_e32 v140, v21, v140                              // 000000004F40: 0B191915
	v_mul_f32_e32 v141, v21, v141                              // 000000004F44: 0B1B1B15
	v_mul_f32_e32 v142, v21, v142                              // 000000004F48: 0B1D1D15
	v_mul_f32_e32 v143, v21, v143                              // 000000004F4C: 0B1F1F15
	v_cvt_i32_f32_e32 v140, v140                               // 000000004F50: 7F18118C
	v_cvt_i32_f32_e32 v141, v141                               // 000000004F54: 7F1A118D
	v_cvt_i32_f32_e32 v142, v142                               // 000000004F58: 7F1C118E
	v_cvt_i32_f32_e32 v143, v143                               // 000000004F5C: 7F1E118F
	v_perm_b32 v131, v141, v140, s53                           // 000000004F60: D1ED0083 00D7198D
	v_perm_b32 v131, v142, v131, s54                           // 000000004F68: D1ED0083 00DB078E
	v_perm_b32 v131, v143, v131, s55                           // 000000004F70: D1ED0083 00DF078F
	v_mul_f32_e32 v144, v20, v144                              // 000000004F78: 0B212114
	v_mul_f32_e32 v145, v20, v145                              // 000000004F7C: 0B232314
	v_mul_f32_e32 v146, v20, v146                              // 000000004F80: 0B252514
	v_mul_f32_e32 v147, v20, v147                              // 000000004F84: 0B272714
	v_cvt_i32_f32_e32 v144, v144                               // 000000004F88: 7F201190
	v_cvt_i32_f32_e32 v145, v145                               // 000000004F8C: 7F221191
	v_cvt_i32_f32_e32 v146, v146                               // 000000004F90: 7F241192
	v_cvt_i32_f32_e32 v147, v147                               // 000000004F94: 7F261193
	v_perm_b32 v132, v145, v144, s53                           // 000000004F98: D1ED0084 00D72191
	v_perm_b32 v132, v146, v132, s54                           // 000000004FA0: D1ED0084 00DB0992
	v_perm_b32 v132, v147, v132, s55                           // 000000004FA8: D1ED0084 00DF0993
	v_mul_f32_e32 v148, v21, v148                              // 000000004FB0: 0B292915
	v_mul_f32_e32 v149, v21, v149                              // 000000004FB4: 0B2B2B15
	v_mul_f32_e32 v150, v21, v150                              // 000000004FB8: 0B2D2D15
	v_mul_f32_e32 v151, v21, v151                              // 000000004FBC: 0B2F2F15
	v_cvt_i32_f32_e32 v148, v148                               // 000000004FC0: 7F281194
	v_cvt_i32_f32_e32 v149, v149                               // 000000004FC4: 7F2A1195
	v_cvt_i32_f32_e32 v150, v150                               // 000000004FC8: 7F2C1196
	v_cvt_i32_f32_e32 v151, v151                               // 000000004FCC: 7F2E1197
	v_perm_b32 v133, v149, v148, s53                           // 000000004FD0: D1ED0085 00D72995
	v_perm_b32 v133, v150, v133, s54                           // 000000004FD8: D1ED0085 00DB0B96
	v_perm_b32 v133, v151, v133, s55                           // 000000004FE0: D1ED0085 00DF0B97
	v_mul_f32_e32 v152, v20, v152                              // 000000004FE8: 0B313114
	v_mul_f32_e32 v153, v20, v153                              // 000000004FEC: 0B333314
	v_mul_f32_e32 v154, v20, v154                              // 000000004FF0: 0B353514
	v_mul_f32_e32 v155, v20, v155                              // 000000004FF4: 0B373714
	v_cvt_i32_f32_e32 v152, v152                               // 000000004FF8: 7F301198
	v_cvt_i32_f32_e32 v153, v153                               // 000000004FFC: 7F321199
	v_cvt_i32_f32_e32 v154, v154                               // 000000005000: 7F34119A
	v_cvt_i32_f32_e32 v155, v155                               // 000000005004: 7F36119B
	v_perm_b32 v134, v153, v152, s53                           // 000000005008: D1ED0086 00D73199
	v_perm_b32 v134, v154, v134, s54                           // 000000005010: D1ED0086 00DB0D9A
	v_perm_b32 v134, v155, v134, s55                           // 000000005018: D1ED0086 00DF0D9B
	v_mul_f32_e32 v156, v21, v156                              // 000000005020: 0B393915
	v_mul_f32_e32 v157, v21, v157                              // 000000005024: 0B3B3B15
	v_mul_f32_e32 v158, v21, v158                              // 000000005028: 0B3D3D15
	v_mul_f32_e32 v159, v21, v159                              // 00000000502C: 0B3F3F15
	v_cvt_i32_f32_e32 v156, v156                               // 000000005030: 7F38119C
	v_cvt_i32_f32_e32 v157, v157                               // 000000005034: 7F3A119D
	v_cvt_i32_f32_e32 v158, v158                               // 000000005038: 7F3C119E
	v_cvt_i32_f32_e32 v159, v159                               // 00000000503C: 7F3E119F
	v_perm_b32 v135, v157, v156, s53                           // 000000005040: D1ED0087 00D7399D
	v_perm_b32 v135, v158, v135, s54                           // 000000005048: D1ED0087 00DB0F9E
	v_perm_b32 v135, v159, v135, s55                           // 000000005050: D1ED0087 00DF0F9F
	v_rcp_f32_e32 v22, v20                                     // 000000005058: 7E2C4514
	v_rcp_f32_e32 v23, v21                                     // 00000000505C: 7E2E4515
	v_lshrrev_b32_e32 v46, 5, v0                               // 000000005060: 205C0085
	v_lshlrev_b32_e32 v47, 5, v46                              // 000000005064: 245E5C85
	v_and_b32_e32 v46, 31, v0                                  // 000000005068: 265C009F
	v_lshrrev_b32_e32 v48, 4, v46                              // 00000000506C: 20605C84
	v_add_u32_e32 v47, v48, v47                                // 000000005070: 685E5F30
	v_and_b32_e32 v46, 15, v0                                  // 000000005074: 265C008F
	v_lshlrev_b32_e32 v46, 1, v46                              // 000000005078: 245C5C81
	v_add_u32_e32 v47, v46, v47                                // 00000000507C: 685E5F2E
	v_lshlrev_b32_e32 v46, 2, v47                              // 000000005080: 245C5E82
	s_mul_i32 s60, 0x100, s7                                   // 000000005084: 923C07FF 00000100
	v_add_u32_e64 v46, v46, s60                                // 00000000508C: D134002E 0000792E
	ds_write_b32 v46, v128 offset:18688                        // 000000005094: D81A4900 0000802E
	ds_write_b32 v46, v129 offset:22784                        // 00000000509C: D81A5900 0000812E
	ds_write_b32 v46, v130 offset:19712                        // 0000000050A4: D81A4D00 0000822E
	ds_write_b32 v46, v131 offset:23808                        // 0000000050AC: D81A5D00 0000832E
	ds_write_b32 v46, v132 offset:20736                        // 0000000050B4: D81A5100 0000842E
	ds_write_b32 v46, v133 offset:24832                        // 0000000050BC: D81A6100 0000852E
	ds_write_b32 v46, v134 offset:21760                        // 0000000050C4: D81A5500 0000862E
	ds_write_b32 v46, v135 offset:25856                        // 0000000050CC: D81A6500 0000872E
	s_waitcnt lgkmcnt(0)                                       // 0000000050D4: BF8CC07F
	s_barrier                                                  // 0000000050D8: BF8A0000
	v_lshrrev_b32_e32 v46, 4, v0                               // 0000000050DC: 205C0084
	v_lshlrev_b32_e32 v47, 6, v46                              // 0000000050E0: 245E5C86
	v_and_b32_e32 v46, 15, v0                                  // 0000000050E4: 265C008F
	v_lshlrev_b32_e32 v46, 1, v46                              // 0000000050E8: 245C5C81
	v_add_u32_e32 v47, v46, v47                                // 0000000050EC: 685E5F2E
	v_lshlrev_b32_e32 v46, 2, v47                              // 0000000050F0: 245C5E82
	ds_read_b64 v[128:129], v46 offset:18688                   // 0000000050F4: D8EC4900 8000002E
	ds_read_b64 v[130:131], v46 offset:18816                   // 0000000050FC: D8EC4980 8200002E
	ds_read_b64 v[132:133], v46 offset:19712                   // 000000005104: D8EC4D00 8400002E
	ds_read_b64 v[134:135], v46 offset:19840                   // 00000000510C: D8EC4D80 8600002E
	ds_read_b64 v[136:137], v46 offset:20736                   // 000000005114: D8EC5100 8800002E
	ds_read_b64 v[138:139], v46 offset:20864                   // 00000000511C: D8EC5180 8A00002E
	ds_read_b64 v[140:141], v46 offset:21760                   // 000000005124: D8EC5500 8C00002E
	ds_read_b64 v[142:143], v46 offset:21888                   // 00000000512C: D8EC5580 8E00002E
	ds_read_b64 v[144:145], v46 offset:22784                   // 000000005134: D8EC5900 9000002E
	ds_read_b64 v[146:147], v46 offset:22912                   // 00000000513C: D8EC5980 9200002E
	ds_read_b64 v[148:149], v46 offset:23808                   // 000000005144: D8EC5D00 9400002E
	ds_read_b64 v[150:151], v46 offset:23936                   // 00000000514C: D8EC5D80 9600002E
	ds_read_b64 v[152:153], v46 offset:24832                   // 000000005154: D8EC6100 9800002E
	ds_read_b64 v[154:155], v46 offset:24960                   // 00000000515C: D8EC6180 9A00002E
	ds_read_b64 v[156:157], v46 offset:25856                   // 000000005164: D8EC6500 9C00002E
	ds_read_b64 v[158:159], v46 offset:25984                   // 00000000516C: D8EC6580 9E00002E
	s_add_u32 s12, s56, s12                                    // 000000005174: 800C0C38
	s_addc_u32 s13, 0, s13                                     // 000000005178: 820D0D80
	s_add_u32 s16, s79, s16                                    // 00000000517C: 8010104F
	s_addc_u32 s17, 0, s17                                     // 000000005180: 82111180
	s_mov_b32 s80, 0                                           // 000000005184: BED00080
	s_waitcnt vmcnt(0) expcnt(0) lgkmcnt(0)                    // 000000005188: BF8C0000

000000000000518c <label_08E3>:
	s_waitcnt vmcnt(29)                                        // 00000000518C: BF8C4F7D
	s_barrier                                                  // 000000005190: BF8A0000
	v_mfma_i32_16x16x32_i8 v[160:163], a[0:1], v[128:129], 0   // 000000005194: D3D700A0 0A030100
	v_mfma_i32_16x16x32_i8 v[160:163], a[2:3], v[130:131], v[160:163]// 00000000519C: D3D700A0 0E830502
	buffer_load_dwordx4 a[64:67], v36, s[12:15], 0 offen       // 0000000051A4: E05C1000 80834024
	v_mfma_i32_16x16x32_i8 v[164:167], a[0:1], v[144:145], 0   // 0000000051AC: D3D700A4 0A032100
	v_mfma_i32_16x16x32_i8 v[164:167], a[2:3], v[146:147], v[164:167]// 0000000051B4: D3D700A4 0E932502
	v_mfma_i32_16x16x32_i8 v[168:171], a[4:5], v[128:129], 0   // 0000000051BC: D3D700A8 0A030104
	v_mfma_i32_16x16x32_i8 v[168:171], a[6:7], v[130:131], v[168:171]// 0000000051C4: D3D700A8 0EA30506
	buffer_load_dwordx4 a[68:71], v37, s[12:15], 0 offen       // 0000000051CC: E05C1000 80834425
	v_mfma_i32_16x16x32_i8 v[172:175], a[4:5], v[144:145], 0   // 0000000051D4: D3D700AC 0A032104
	v_mfma_i32_16x16x32_i8 v[172:175], a[6:7], v[146:147], v[172:175]// 0000000051DC: D3D700AC 0EB32506
	v_mfma_i32_16x16x32_i8 v[176:179], a[8:9], v[128:129], 0   // 0000000051E4: D3D700B0 0A030108
	v_mfma_i32_16x16x32_i8 v[176:179], a[10:11], v[130:131], v[176:179]// 0000000051EC: D3D700B0 0EC3050A
	buffer_load_dwordx4 a[72:75], v38, s[12:15], 0 offen       // 0000000051F4: E05C1000 80834826
	v_mfma_i32_16x16x32_i8 v[180:183], a[8:9], v[144:145], 0   // 0000000051FC: D3D700B4 0A032108
	v_mfma_i32_16x16x32_i8 v[180:183], a[10:11], v[146:147], v[180:183]// 000000005204: D3D700B4 0ED3250A
	v_mfma_i32_16x16x32_i8 v[184:187], a[12:13], v[128:129], 0 // 00000000520C: D3D700B8 0A03010C
	v_mfma_i32_16x16x32_i8 v[184:187], a[14:15], v[130:131], v[184:187]// 000000005214: D3D700B8 0EE3050E
	buffer_load_dwordx4 a[76:79], v39, s[12:15], 0 offen       // 00000000521C: E05C1000 80834C27
	s_add_u32 s12, s78, s12                                    // 000000005224: 800C0C4E
	s_addc_u32 s13, 0, s13                                     // 000000005228: 820D0D80
	v_mfma_i32_16x16x32_i8 v[188:191], a[12:13], v[144:145], 0 // 00000000522C: D3D700BC 0A03210C
	v_mfma_i32_16x16x32_i8 v[188:191], a[14:15], v[146:147], v[188:191]// 000000005234: D3D700BC 0EF3250E
	s_waitcnt vmcnt(29)                                        // 00000000523C: BF8C4F7D
	v_mfma_i32_16x16x32_i8 v[160:163], a[16:17], v[132:133], v[160:163]// 000000005240: D3D700A0 0E830910
	v_mfma_i32_16x16x32_i8 v[160:163], a[18:19], v[134:135], v[160:163]// 000000005248: D3D700A0 0E830D12
	buffer_load_dwordx4 a[80:83], v36, s[12:15], 0 offen       // 000000005250: E05C1000 80835024
	v_mfma_i32_16x16x32_i8 v[164:167], a[16:17], v[148:149], v[164:167]// 000000005258: D3D700A4 0E932910
	v_mfma_i32_16x16x32_i8 v[164:167], a[18:19], v[150:151], v[164:167]// 000000005260: D3D700A4 0E932D12
	v_mfma_i32_16x16x32_i8 v[168:171], a[20:21], v[132:133], v[168:171]// 000000005268: D3D700A8 0EA30914
	v_mfma_i32_16x16x32_i8 v[168:171], a[22:23], v[134:135], v[168:171]// 000000005270: D3D700A8 0EA30D16
	buffer_load_dwordx4 a[84:87], v37, s[12:15], 0 offen       // 000000005278: E05C1000 80835425
	v_mfma_i32_16x16x32_i8 v[172:175], a[20:21], v[148:149], v[172:175]// 000000005280: D3D700AC 0EB32914
	v_mfma_i32_16x16x32_i8 v[172:175], a[22:23], v[150:151], v[172:175]// 000000005288: D3D700AC 0EB32D16
	v_mfma_i32_16x16x32_i8 v[176:179], a[24:25], v[132:133], v[176:179]// 000000005290: D3D700B0 0EC30918
	v_mfma_i32_16x16x32_i8 v[176:179], a[26:27], v[134:135], v[176:179]// 000000005298: D3D700B0 0EC30D1A
	buffer_load_dwordx4 a[88:91], v38, s[12:15], 0 offen       // 0000000052A0: E05C1000 80835826
	v_mfma_i32_16x16x32_i8 v[180:183], a[24:25], v[148:149], v[180:183]// 0000000052A8: D3D700B4 0ED32918
	v_mfma_i32_16x16x32_i8 v[180:183], a[26:27], v[150:151], v[180:183]// 0000000052B0: D3D700B4 0ED32D1A
	v_mfma_i32_16x16x32_i8 v[184:187], a[28:29], v[132:133], v[184:187]// 0000000052B8: D3D700B8 0EE3091C
	v_mfma_i32_16x16x32_i8 v[184:187], a[30:31], v[134:135], v[184:187]// 0000000052C0: D3D700B8 0EE30D1E
	buffer_load_dwordx4 a[92:95], v39, s[12:15], 0 offen       // 0000000052C8: E05C1000 80835C27
	s_add_u32 s12, s78, s12                                    // 0000000052D0: 800C0C4E
	s_addc_u32 s13, 0, s13                                     // 0000000052D4: 820D0D80
	v_mfma_i32_16x16x32_i8 v[188:191], a[28:29], v[148:149], v[188:191]// 0000000052D8: D3D700BC 0EF3291C
	v_mfma_i32_16x16x32_i8 v[188:191], a[30:31], v[150:151], v[188:191]// 0000000052E0: D3D700BC 0EF32D1E
	s_waitcnt vmcnt(29)                                        // 0000000052E8: BF8C4F7D
	v_mfma_i32_16x16x32_i8 v[160:163], a[32:33], v[136:137], v[160:163]// 0000000052EC: D3D700A0 0E831120
	v_mfma_i32_16x16x32_i8 v[160:163], a[34:35], v[138:139], v[160:163]// 0000000052F4: D3D700A0 0E831522
	buffer_load_dwordx4 a[96:99], v36, s[12:15], 0 offen       // 0000000052FC: E05C1000 80836024
	v_mfma_i32_16x16x32_i8 v[164:167], a[32:33], v[152:153], v[164:167]// 000000005304: D3D700A4 0E933120
	v_mfma_i32_16x16x32_i8 v[164:167], a[34:35], v[154:155], v[164:167]// 00000000530C: D3D700A4 0E933522
	v_mfma_i32_16x16x32_i8 v[168:171], a[36:37], v[136:137], v[168:171]// 000000005314: D3D700A8 0EA31124
	v_mfma_i32_16x16x32_i8 v[168:171], a[38:39], v[138:139], v[168:171]// 00000000531C: D3D700A8 0EA31526
	buffer_load_dwordx4 a[100:103], v37, s[12:15], 0 offen     // 000000005324: E05C1000 80836425
	v_mfma_i32_16x16x32_i8 v[172:175], a[36:37], v[152:153], v[172:175]// 00000000532C: D3D700AC 0EB33124
	v_mfma_i32_16x16x32_i8 v[172:175], a[38:39], v[154:155], v[172:175]// 000000005334: D3D700AC 0EB33526
	v_mfma_i32_16x16x32_i8 v[176:179], a[40:41], v[136:137], v[176:179]// 00000000533C: D3D700B0 0EC31128
	v_mfma_i32_16x16x32_i8 v[176:179], a[42:43], v[138:139], v[176:179]// 000000005344: D3D700B0 0EC3152A
	buffer_load_dwordx4 a[104:107], v38, s[12:15], 0 offen     // 00000000534C: E05C1000 80836826
	v_mfma_i32_16x16x32_i8 v[180:183], a[40:41], v[152:153], v[180:183]// 000000005354: D3D700B4 0ED33128
	v_mfma_i32_16x16x32_i8 v[180:183], a[42:43], v[154:155], v[180:183]// 00000000535C: D3D700B4 0ED3352A
	v_mfma_i32_16x16x32_i8 v[184:187], a[44:45], v[136:137], v[184:187]// 000000005364: D3D700B8 0EE3112C
	v_mfma_i32_16x16x32_i8 v[184:187], a[46:47], v[138:139], v[184:187]// 00000000536C: D3D700B8 0EE3152E
	buffer_load_dwordx4 a[108:111], v39, s[12:15], 0 offen     // 000000005374: E05C1000 80836C27
	s_add_u32 s12, s78, s12                                    // 00000000537C: 800C0C4E
	s_addc_u32 s13, 0, s13                                     // 000000005380: 820D0D80
	v_mfma_i32_16x16x32_i8 v[188:191], a[44:45], v[152:153], v[188:191]// 000000005384: D3D700BC 0EF3312C
	v_mfma_i32_16x16x32_i8 v[188:191], a[46:47], v[154:155], v[188:191]// 00000000538C: D3D700BC 0EF3352E
	s_waitcnt vmcnt(28)                                        // 000000005394: BF8C4F7C
	v_mfma_i32_16x16x32_i8 v[160:163], a[48:49], v[140:141], v[160:163]// 000000005398: D3D700A0 0E831930
	v_mfma_i32_16x16x32_i8 v[160:163], a[50:51], v[142:143], v[160:163]// 0000000053A0: D3D700A0 0E831D32
	buffer_load_dwordx4 a[112:115], v36, s[12:15], 0 offen     // 0000000053A8: E05C1000 80837024
	v_mfma_i32_16x16x32_i8 v[164:167], a[48:49], v[156:157], v[164:167]// 0000000053B0: D3D700A4 0E933930
	v_mfma_i32_16x16x32_i8 v[164:167], a[50:51], v[158:159], v[164:167]// 0000000053B8: D3D700A4 0E933D32
	buffer_load_dword v12, v5, s[16:19], 0 offen               // 0000000053C0: E0501000 80040C05
	v_mfma_i32_16x16x32_i8 v[168:171], a[52:53], v[140:141], v[168:171]// 0000000053C8: D3D700A8 0EA31934
	v_mfma_i32_16x16x32_i8 v[168:171], a[54:55], v[142:143], v[168:171]// 0000000053D0: D3D700A8 0EA31D36
	buffer_load_dwordx4 a[116:119], v37, s[12:15], 0 offen     // 0000000053D8: E05C1000 80837425
	v_mfma_i32_16x16x32_i8 v[172:175], a[52:53], v[156:157], v[172:175]// 0000000053E0: D3D700AC 0EB33934
	v_mfma_i32_16x16x32_i8 v[172:175], a[54:55], v[158:159], v[172:175]// 0000000053E8: D3D700AC 0EB33D36
	v_mfma_i32_16x16x32_i8 v[176:179], a[56:57], v[140:141], v[176:179]// 0000000053F0: D3D700B0 0EC31938
	v_mfma_i32_16x16x32_i8 v[176:179], a[58:59], v[142:143], v[176:179]// 0000000053F8: D3D700B0 0EC31D3A
	buffer_load_dwordx4 a[120:123], v38, s[12:15], 0 offen     // 000000005400: E05C1000 80837826
	v_mfma_i32_16x16x32_i8 v[180:183], a[56:57], v[156:157], v[180:183]// 000000005408: D3D700B4 0ED33938
	v_mfma_i32_16x16x32_i8 v[180:183], a[58:59], v[158:159], v[180:183]// 000000005410: D3D700B4 0ED33D3A
	v_mfma_i32_16x16x32_i8 v[184:187], a[60:61], v[140:141], v[184:187]// 000000005418: D3D700B8 0EE3193C
	v_mfma_i32_16x16x32_i8 v[184:187], a[62:63], v[142:143], v[184:187]// 000000005420: D3D700B8 0EE31D3E
	buffer_load_dwordx4 a[124:127], v39, s[12:15], 0 offen     // 000000005428: E05C1000 80837C27
	v_mfma_i32_16x16x32_i8 v[188:191], a[60:61], v[156:157], v[188:191]// 000000005430: D3D700BC 0EF3393C
	v_mfma_i32_16x16x32_i8 v[188:191], a[62:63], v[158:159], v[188:191]// 000000005438: D3D700BC 0EF33D3E
	s_add_u32 s60, 0x200, s80                                  // 000000005440: 803C50FF 00000200
	s_cmp_lt_u32 s60, s81                                      // 000000005448: BF0A513C
	s_cselect_b32 s56, s56, 0                                  // 00000000544C: 85388038
	s_cselect_b32 s78, s78, 0                                  // 000000005450: 854E804E
	s_cselect_b32 s79, s79, 0                                  // 000000005454: 854F804F
	s_add_u32 s12, s56, s12                                    // 000000005458: 800C0C38
	s_addc_u32 s13, 0, s13                                     // 00000000545C: 820D0D80
	s_add_u32 s16, s79, s16                                    // 000000005460: 8010104F
	s_addc_u32 s17, 0, s17                                     // 000000005464: 82111180
	v_cvt_f32_i32_e32 v160, v160                               // 000000005468: 7F400BA0
	v_cvt_f32_i32_e32 v161, v161                               // 00000000546C: 7F420BA1
	v_cvt_f32_i32_e32 v162, v162                               // 000000005470: 7F440BA2
	v_cvt_f32_i32_e32 v163, v163                               // 000000005474: 7F460BA3
	v_mul_f32_e32 v160, v22, v160                              // 000000005478: 0B414116
	v_mul_f32_e32 v161, v22, v161                              // 00000000547C: 0B434316
	v_mul_f32_e32 v162, v22, v162                              // 000000005480: 0B454516
	v_mul_f32_e32 v163, v22, v163                              // 000000005484: 0B474716
	v_mul_f32_dpp v160, v11, v160 row_newbcast:0 row_mask:0xf bank_mask:0xf// 000000005488: 0B4140FA FF01500B
	v_mul_f32_dpp v161, v11, v161 row_newbcast:1 row_mask:0xf bank_mask:0xf// 000000005490: 0B4342FA FF01510B
	v_mul_f32_dpp v162, v11, v162 row_newbcast:2 row_mask:0xf bank_mask:0xf// 000000005498: 0B4544FA FF01520B
	v_mul_f32_dpp v163, v11, v163 row_newbcast:3 row_mask:0xf bank_mask:0xf// 0000000054A0: 0B4746FA FF01530B
	v_mul_f32_e32 v160, v17, v160                              // 0000000054A8: 0B414111
	v_mul_f32_e32 v161, v17, v161                              // 0000000054AC: 0B434311
	v_mul_f32_e32 v162, v17, v162                              // 0000000054B0: 0B454511
	v_mul_f32_e32 v163, v17, v163                              // 0000000054B4: 0B474711
	v_cvt_f32_i32_e32 v164, v164                               // 0000000054B8: 7F480BA4
	v_cvt_f32_i32_e32 v165, v165                               // 0000000054BC: 7F4A0BA5
	v_cvt_f32_i32_e32 v166, v166                               // 0000000054C0: 7F4C0BA6
	v_cvt_f32_i32_e32 v167, v167                               // 0000000054C4: 7F4E0BA7
	v_mul_f32_e32 v164, v23, v164                              // 0000000054C8: 0B494917
	v_mul_f32_e32 v165, v23, v165                              // 0000000054CC: 0B4B4B17
	v_mul_f32_e32 v166, v23, v166                              // 0000000054D0: 0B4D4D17
	v_mul_f32_e32 v167, v23, v167                              // 0000000054D4: 0B4F4F17
	v_mul_f32_dpp v164, v11, v164 row_newbcast:0 row_mask:0xf bank_mask:0xf// 0000000054D8: 0B4948FA FF01500B
	v_mul_f32_dpp v165, v11, v165 row_newbcast:1 row_mask:0xf bank_mask:0xf// 0000000054E0: 0B4B4AFA FF01510B
	v_mul_f32_dpp v166, v11, v166 row_newbcast:2 row_mask:0xf bank_mask:0xf// 0000000054E8: 0B4D4CFA FF01520B
	v_mul_f32_dpp v167, v11, v167 row_newbcast:3 row_mask:0xf bank_mask:0xf// 0000000054F0: 0B4F4EFA FF01530B
	v_mul_f32_e32 v164, v18, v164                              // 0000000054F8: 0B494912
	v_mul_f32_e32 v165, v18, v165                              // 0000000054FC: 0B4B4B12
	v_mul_f32_e32 v166, v18, v166                              // 000000005500: 0B4D4D12
	v_mul_f32_e32 v167, v18, v167                              // 000000005504: 0B4F4F12
	v_cvt_f32_i32_e32 v168, v168                               // 000000005508: 7F500BA8
	v_cvt_f32_i32_e32 v169, v169                               // 00000000550C: 7F520BA9
	v_cvt_f32_i32_e32 v170, v170                               // 000000005510: 7F540BAA
	v_cvt_f32_i32_e32 v171, v171                               // 000000005514: 7F560BAB
	v_mul_f32_e32 v168, v22, v168                              // 000000005518: 0B515116
	v_mul_f32_e32 v169, v22, v169                              // 00000000551C: 0B535316
	v_mul_f32_e32 v170, v22, v170                              // 000000005520: 0B555516
	v_mul_f32_e32 v171, v22, v171                              // 000000005524: 0B575716
	v_mul_f32_dpp v168, v11, v168 row_newbcast:4 row_mask:0xf bank_mask:0xf// 000000005528: 0B5150FA FF01540B
	v_mul_f32_dpp v169, v11, v169 row_newbcast:5 row_mask:0xf bank_mask:0xf// 000000005530: 0B5352FA FF01550B
	v_mul_f32_dpp v170, v11, v170 row_newbcast:6 row_mask:0xf bank_mask:0xf// 000000005538: 0B5554FA FF01560B
	v_mul_f32_dpp v171, v11, v171 row_newbcast:7 row_mask:0xf bank_mask:0xf// 000000005540: 0B5756FA FF01570B
	v_mul_f32_e32 v168, v17, v168                              // 000000005548: 0B515111
	v_mul_f32_e32 v169, v17, v169                              // 00000000554C: 0B535311
	v_mul_f32_e32 v170, v17, v170                              // 000000005550: 0B555511
	v_mul_f32_e32 v171, v17, v171                              // 000000005554: 0B575711
	v_cvt_f32_i32_e32 v172, v172                               // 000000005558: 7F580BAC
	v_cvt_f32_i32_e32 v173, v173                               // 00000000555C: 7F5A0BAD
	v_cvt_f32_i32_e32 v174, v174                               // 000000005560: 7F5C0BAE
	v_cvt_f32_i32_e32 v175, v175                               // 000000005564: 7F5E0BAF
	v_mul_f32_e32 v172, v23, v172                              // 000000005568: 0B595917
	v_mul_f32_e32 v173, v23, v173                              // 00000000556C: 0B5B5B17
	v_mul_f32_e32 v174, v23, v174                              // 000000005570: 0B5D5D17
	v_mul_f32_e32 v175, v23, v175                              // 000000005574: 0B5F5F17
	v_mul_f32_dpp v172, v11, v172 row_newbcast:4 row_mask:0xf bank_mask:0xf// 000000005578: 0B5958FA FF01540B
	v_mul_f32_dpp v173, v11, v173 row_newbcast:5 row_mask:0xf bank_mask:0xf// 000000005580: 0B5B5AFA FF01550B
	v_mul_f32_dpp v174, v11, v174 row_newbcast:6 row_mask:0xf bank_mask:0xf// 000000005588: 0B5D5CFA FF01560B
	v_mul_f32_dpp v175, v11, v175 row_newbcast:7 row_mask:0xf bank_mask:0xf// 000000005590: 0B5F5EFA FF01570B
	v_mul_f32_e32 v172, v18, v172                              // 000000005598: 0B595912
	v_mul_f32_e32 v173, v18, v173                              // 00000000559C: 0B5B5B12
	v_mul_f32_e32 v174, v18, v174                              // 0000000055A0: 0B5D5D12
	v_mul_f32_e32 v175, v18, v175                              // 0000000055A4: 0B5F5F12
	v_cvt_f32_i32_e32 v176, v176                               // 0000000055A8: 7F600BB0
	v_cvt_f32_i32_e32 v177, v177                               // 0000000055AC: 7F620BB1
	v_cvt_f32_i32_e32 v178, v178                               // 0000000055B0: 7F640BB2
	v_cvt_f32_i32_e32 v179, v179                               // 0000000055B4: 7F660BB3
	v_mul_f32_e32 v176, v22, v176                              // 0000000055B8: 0B616116
	v_mul_f32_e32 v177, v22, v177                              // 0000000055BC: 0B636316
	v_mul_f32_e32 v178, v22, v178                              // 0000000055C0: 0B656516
	v_mul_f32_e32 v179, v22, v179                              // 0000000055C4: 0B676716
	v_mul_f32_dpp v176, v11, v176 row_newbcast:8 row_mask:0xf bank_mask:0xf// 0000000055C8: 0B6160FA FF01580B
	v_mul_f32_dpp v177, v11, v177 row_newbcast:9 row_mask:0xf bank_mask:0xf// 0000000055D0: 0B6362FA FF01590B
	v_mul_f32_dpp v178, v11, v178 row_newbcast:10 row_mask:0xf bank_mask:0xf// 0000000055D8: 0B6564FA FF015A0B
	v_mul_f32_dpp v179, v11, v179 row_newbcast:11 row_mask:0xf bank_mask:0xf// 0000000055E0: 0B6766FA FF015B0B
	v_mul_f32_e32 v176, v17, v176                              // 0000000055E8: 0B616111
	v_mul_f32_e32 v177, v17, v177                              // 0000000055EC: 0B636311
	v_mul_f32_e32 v178, v17, v178                              // 0000000055F0: 0B656511
	v_mul_f32_e32 v179, v17, v179                              // 0000000055F4: 0B676711
	v_cvt_f32_i32_e32 v180, v180                               // 0000000055F8: 7F680BB4
	v_cvt_f32_i32_e32 v181, v181                               // 0000000055FC: 7F6A0BB5
	v_cvt_f32_i32_e32 v182, v182                               // 000000005600: 7F6C0BB6
	v_cvt_f32_i32_e32 v183, v183                               // 000000005604: 7F6E0BB7
	v_mul_f32_e32 v180, v23, v180                              // 000000005608: 0B696917
	v_mul_f32_e32 v181, v23, v181                              // 00000000560C: 0B6B6B17
	v_mul_f32_e32 v182, v23, v182                              // 000000005610: 0B6D6D17
	v_mul_f32_e32 v183, v23, v183                              // 000000005614: 0B6F6F17
	v_mul_f32_dpp v180, v11, v180 row_newbcast:8 row_mask:0xf bank_mask:0xf// 000000005618: 0B6968FA FF01580B
	v_mul_f32_dpp v181, v11, v181 row_newbcast:9 row_mask:0xf bank_mask:0xf// 000000005620: 0B6B6AFA FF01590B
	v_mul_f32_dpp v182, v11, v182 row_newbcast:10 row_mask:0xf bank_mask:0xf// 000000005628: 0B6D6CFA FF015A0B
	v_mul_f32_dpp v183, v11, v183 row_newbcast:11 row_mask:0xf bank_mask:0xf// 000000005630: 0B6F6EFA FF015B0B
	v_mul_f32_e32 v180, v18, v180                              // 000000005638: 0B696912
	v_mul_f32_e32 v181, v18, v181                              // 00000000563C: 0B6B6B12
	v_mul_f32_e32 v182, v18, v182                              // 000000005640: 0B6D6D12
	v_mul_f32_e32 v183, v18, v183                              // 000000005644: 0B6F6F12
	v_cvt_f32_i32_e32 v184, v184                               // 000000005648: 7F700BB8
	v_cvt_f32_i32_e32 v185, v185                               // 00000000564C: 7F720BB9
	v_cvt_f32_i32_e32 v186, v186                               // 000000005650: 7F740BBA
	v_cvt_f32_i32_e32 v187, v187                               // 000000005654: 7F760BBB
	v_mul_f32_e32 v184, v22, v184                              // 000000005658: 0B717116
	v_mul_f32_e32 v185, v22, v185                              // 00000000565C: 0B737316
	v_mul_f32_e32 v186, v22, v186                              // 000000005660: 0B757516
	v_mul_f32_e32 v187, v22, v187                              // 000000005664: 0B777716
	v_mul_f32_dpp v184, v11, v184 row_newbcast:12 row_mask:0xf bank_mask:0xf// 000000005668: 0B7170FA FF015C0B
	v_mul_f32_dpp v185, v11, v185 row_newbcast:13 row_mask:0xf bank_mask:0xf// 000000005670: 0B7372FA FF015D0B
	v_mul_f32_dpp v186, v11, v186 row_newbcast:14 row_mask:0xf bank_mask:0xf// 000000005678: 0B7574FA FF015E0B
	v_mul_f32_dpp v187, v11, v187 row_newbcast:15 row_mask:0xf bank_mask:0xf// 000000005680: 0B7776FA FF015F0B
	v_mul_f32_e32 v184, v17, v184                              // 000000005688: 0B717111
	v_mul_f32_e32 v185, v17, v185                              // 00000000568C: 0B737311
	v_mul_f32_e32 v186, v17, v186                              // 000000005690: 0B757511
	v_mul_f32_e32 v187, v17, v187                              // 000000005694: 0B777711
	v_cvt_f32_i32_e32 v188, v188                               // 000000005698: 7F780BBC
	v_cvt_f32_i32_e32 v189, v189                               // 00000000569C: 7F7A0BBD
	v_cvt_f32_i32_e32 v190, v190                               // 0000000056A0: 7F7C0BBE
	v_cvt_f32_i32_e32 v191, v191                               // 0000000056A4: 7F7E0BBF
	v_mul_f32_e32 v188, v23, v188                              // 0000000056A8: 0B797917
	v_mul_f32_e32 v189, v23, v189                              // 0000000056AC: 0B7B7B17
	v_mul_f32_e32 v190, v23, v190                              // 0000000056B0: 0B7D7D17
	v_mul_f32_e32 v191, v23, v191                              // 0000000056B4: 0B7F7F17
	v_mul_f32_dpp v188, v11, v188 row_newbcast:12 row_mask:0xf bank_mask:0xf// 0000000056B8: 0B7978FA FF015C0B
	v_mul_f32_dpp v189, v11, v189 row_newbcast:13 row_mask:0xf bank_mask:0xf// 0000000056C0: 0B7B7AFA FF015D0B
	v_mul_f32_dpp v190, v11, v190 row_newbcast:14 row_mask:0xf bank_mask:0xf// 0000000056C8: 0B7D7CFA FF015E0B
	v_mul_f32_dpp v191, v11, v191 row_newbcast:15 row_mask:0xf bank_mask:0xf// 0000000056D0: 0B7F7EFA FF015F0B
	v_mul_f32_e32 v188, v18, v188                              // 0000000056D8: 0B797912
	v_mul_f32_e32 v189, v18, v189                              // 0000000056DC: 0B7B7B12
	v_mul_f32_e32 v190, v18, v190                              // 0000000056E0: 0B7D7D12
	v_mul_f32_e32 v191, v18, v191                              // 0000000056E4: 0B7F7F12
	v_cmp_u_f32_e64 s[48:49], v160, v160                       // 0000000056E8: D0480030 000341A0
	v_add3_u32 v40, v160, v43, 1                               // 0000000056F0: D1FF0028 020657A0
	v_cndmask_b32_e64 v46, v40, v42, s[48:49]                  // 0000000056F8: D100002E 00C25528
	v_cmp_u_f32_e64 s[48:49], v161, v161                       // 000000005700: D0480030 000343A1
	v_add3_u32 v40, v161, v43, 1                               // 000000005708: D1FF0028 020657A1
	v_cndmask_b32_e64 v47, v40, v42, s[48:49]                  // 000000005710: D100002F 00C25528
	v_perm_b32 v160, v47, v46, s52                             // 000000005718: D1ED00A0 00D25D2F
	v_cmp_u_f32_e64 s[48:49], v162, v162                       // 000000005720: D0480030 000345A2
	v_add3_u32 v40, v162, v43, 1                               // 000000005728: D1FF0028 020657A2
	v_cndmask_b32_e64 v46, v40, v42, s[48:49]                  // 000000005730: D100002E 00C25528
	v_cmp_u_f32_e64 s[48:49], v163, v163                       // 000000005738: D0480030 000347A3
	v_add3_u32 v40, v163, v43, 1                               // 000000005740: D1FF0028 020657A3
	v_cndmask_b32_e64 v47, v40, v42, s[48:49]                  // 000000005748: D100002F 00C25528
	v_perm_b32 v161, v47, v46, s52                             // 000000005750: D1ED00A1 00D25D2F
	v_cmp_u_f32_e64 s[48:49], v164, v164                       // 000000005758: D0480030 000349A4
	v_add3_u32 v40, v164, v43, 1                               // 000000005760: D1FF0028 020657A4
	v_cndmask_b32_e64 v46, v40, v42, s[48:49]                  // 000000005768: D100002E 00C25528
	v_cmp_u_f32_e64 s[48:49], v165, v165                       // 000000005770: D0480030 00034BA5
	v_add3_u32 v40, v165, v43, 1                               // 000000005778: D1FF0028 020657A5
	v_cndmask_b32_e64 v47, v40, v42, s[48:49]                  // 000000005780: D100002F 00C25528
	v_perm_b32 v162, v47, v46, s52                             // 000000005788: D1ED00A2 00D25D2F
	v_cmp_u_f32_e64 s[48:49], v166, v166                       // 000000005790: D0480030 00034DA6
	v_add3_u32 v40, v166, v43, 1                               // 000000005798: D1FF0028 020657A6
	v_cndmask_b32_e64 v46, v40, v42, s[48:49]                  // 0000000057A0: D100002E 00C25528
	v_cmp_u_f32_e64 s[48:49], v167, v167                       // 0000000057A8: D0480030 00034FA7
	v_add3_u32 v40, v167, v43, 1                               // 0000000057B0: D1FF0028 020657A7
	v_cndmask_b32_e64 v47, v40, v42, s[48:49]                  // 0000000057B8: D100002F 00C25528
	v_perm_b32 v163, v47, v46, s52                             // 0000000057C0: D1ED00A3 00D25D2F
	v_cmp_u_f32_e64 s[48:49], v168, v168                       // 0000000057C8: D0480030 000351A8
	v_add3_u32 v40, v168, v43, 1                               // 0000000057D0: D1FF0028 020657A8
	v_cndmask_b32_e64 v46, v40, v42, s[48:49]                  // 0000000057D8: D100002E 00C25528
	v_cmp_u_f32_e64 s[48:49], v169, v169                       // 0000000057E0: D0480030 000353A9
	v_add3_u32 v40, v169, v43, 1                               // 0000000057E8: D1FF0028 020657A9
	v_cndmask_b32_e64 v47, v40, v42, s[48:49]                  // 0000000057F0: D100002F 00C25528
	v_perm_b32 v164, v47, v46, s52                             // 0000000057F8: D1ED00A4 00D25D2F
	v_cmp_u_f32_e64 s[48:49], v170, v170                       // 000000005800: D0480030 000355AA
	v_add3_u32 v40, v170, v43, 1                               // 000000005808: D1FF0028 020657AA
	v_cndmask_b32_e64 v46, v40, v42, s[48:49]                  // 000000005810: D100002E 00C25528
	v_cmp_u_f32_e64 s[48:49], v171, v171                       // 000000005818: D0480030 000357AB
	v_add3_u32 v40, v171, v43, 1                               // 000000005820: D1FF0028 020657AB
	v_cndmask_b32_e64 v47, v40, v42, s[48:49]                  // 000000005828: D100002F 00C25528
	v_perm_b32 v165, v47, v46, s52                             // 000000005830: D1ED00A5 00D25D2F
	v_cmp_u_f32_e64 s[48:49], v172, v172                       // 000000005838: D0480030 000359AC
	v_add3_u32 v40, v172, v43, 1                               // 000000005840: D1FF0028 020657AC
	v_cndmask_b32_e64 v46, v40, v42, s[48:49]                  // 000000005848: D100002E 00C25528
	v_cmp_u_f32_e64 s[48:49], v173, v173                       // 000000005850: D0480030 00035BAD
	v_add3_u32 v40, v173, v43, 1                               // 000000005858: D1FF0028 020657AD
	v_cndmask_b32_e64 v47, v40, v42, s[48:49]                  // 000000005860: D100002F 00C25528
	v_perm_b32 v166, v47, v46, s52                             // 000000005868: D1ED00A6 00D25D2F
	v_cmp_u_f32_e64 s[48:49], v174, v174                       // 000000005870: D0480030 00035DAE
	v_add3_u32 v40, v174, v43, 1                               // 000000005878: D1FF0028 020657AE
	v_cndmask_b32_e64 v46, v40, v42, s[48:49]                  // 000000005880: D100002E 00C25528
	v_cmp_u_f32_e64 s[48:49], v175, v175                       // 000000005888: D0480030 00035FAF
	v_add3_u32 v40, v175, v43, 1                               // 000000005890: D1FF0028 020657AF
	v_cndmask_b32_e64 v47, v40, v42, s[48:49]                  // 000000005898: D100002F 00C25528
	v_perm_b32 v167, v47, v46, s52                             // 0000000058A0: D1ED00A7 00D25D2F
	v_cmp_u_f32_e64 s[48:49], v176, v176                       // 0000000058A8: D0480030 000361B0
	v_add3_u32 v40, v176, v43, 1                               // 0000000058B0: D1FF0028 020657B0
	v_cndmask_b32_e64 v46, v40, v42, s[48:49]                  // 0000000058B8: D100002E 00C25528
	v_cmp_u_f32_e64 s[48:49], v177, v177                       // 0000000058C0: D0480030 000363B1
	v_add3_u32 v40, v177, v43, 1                               // 0000000058C8: D1FF0028 020657B1
	v_cndmask_b32_e64 v47, v40, v42, s[48:49]                  // 0000000058D0: D100002F 00C25528
	v_perm_b32 v168, v47, v46, s52                             // 0000000058D8: D1ED00A8 00D25D2F
	v_cmp_u_f32_e64 s[48:49], v178, v178                       // 0000000058E0: D0480030 000365B2
	v_add3_u32 v40, v178, v43, 1                               // 0000000058E8: D1FF0028 020657B2
	v_cndmask_b32_e64 v46, v40, v42, s[48:49]                  // 0000000058F0: D100002E 00C25528
	v_cmp_u_f32_e64 s[48:49], v179, v179                       // 0000000058F8: D0480030 000367B3
	v_add3_u32 v40, v179, v43, 1                               // 000000005900: D1FF0028 020657B3
	v_cndmask_b32_e64 v47, v40, v42, s[48:49]                  // 000000005908: D100002F 00C25528
	v_perm_b32 v169, v47, v46, s52                             // 000000005910: D1ED00A9 00D25D2F
	v_cmp_u_f32_e64 s[48:49], v180, v180                       // 000000005918: D0480030 000369B4
	v_add3_u32 v40, v180, v43, 1                               // 000000005920: D1FF0028 020657B4
	v_cndmask_b32_e64 v46, v40, v42, s[48:49]                  // 000000005928: D100002E 00C25528
	v_cmp_u_f32_e64 s[48:49], v181, v181                       // 000000005930: D0480030 00036BB5
	v_add3_u32 v40, v181, v43, 1                               // 000000005938: D1FF0028 020657B5
	v_cndmask_b32_e64 v47, v40, v42, s[48:49]                  // 000000005940: D100002F 00C25528
	v_perm_b32 v170, v47, v46, s52                             // 000000005948: D1ED00AA 00D25D2F
	v_cmp_u_f32_e64 s[48:49], v182, v182                       // 000000005950: D0480030 00036DB6
	v_add3_u32 v40, v182, v43, 1                               // 000000005958: D1FF0028 020657B6
	v_cndmask_b32_e64 v46, v40, v42, s[48:49]                  // 000000005960: D100002E 00C25528
	v_cmp_u_f32_e64 s[48:49], v183, v183                       // 000000005968: D0480030 00036FB7
	v_add3_u32 v40, v183, v43, 1                               // 000000005970: D1FF0028 020657B7
	v_cndmask_b32_e64 v47, v40, v42, s[48:49]                  // 000000005978: D100002F 00C25528
	v_perm_b32 v171, v47, v46, s52                             // 000000005980: D1ED00AB 00D25D2F
	v_cmp_u_f32_e64 s[48:49], v184, v184                       // 000000005988: D0480030 000371B8
	v_add3_u32 v40, v184, v43, 1                               // 000000005990: D1FF0028 020657B8
	v_cndmask_b32_e64 v46, v40, v42, s[48:49]                  // 000000005998: D100002E 00C25528
	v_cmp_u_f32_e64 s[48:49], v185, v185                       // 0000000059A0: D0480030 000373B9
	v_add3_u32 v40, v185, v43, 1                               // 0000000059A8: D1FF0028 020657B9
	v_cndmask_b32_e64 v47, v40, v42, s[48:49]                  // 0000000059B0: D100002F 00C25528
	v_perm_b32 v172, v47, v46, s52                             // 0000000059B8: D1ED00AC 00D25D2F
	v_cmp_u_f32_e64 s[48:49], v186, v186                       // 0000000059C0: D0480030 000375BA
	v_add3_u32 v40, v186, v43, 1                               // 0000000059C8: D1FF0028 020657BA
	v_cndmask_b32_e64 v46, v40, v42, s[48:49]                  // 0000000059D0: D100002E 00C25528
	v_cmp_u_f32_e64 s[48:49], v187, v187                       // 0000000059D8: D0480030 000377BB
	v_add3_u32 v40, v187, v43, 1                               // 0000000059E0: D1FF0028 020657BB
	v_cndmask_b32_e64 v47, v40, v42, s[48:49]                  // 0000000059E8: D100002F 00C25528
	v_perm_b32 v173, v47, v46, s52                             // 0000000059F0: D1ED00AD 00D25D2F
	v_cmp_u_f32_e64 s[48:49], v188, v188                       // 0000000059F8: D0480030 000379BC
	v_add3_u32 v40, v188, v43, 1                               // 000000005A00: D1FF0028 020657BC
	v_cndmask_b32_e64 v46, v40, v42, s[48:49]                  // 000000005A08: D100002E 00C25528
	v_cmp_u_f32_e64 s[48:49], v189, v189                       // 000000005A10: D0480030 00037BBD
	v_add3_u32 v40, v189, v43, 1                               // 000000005A18: D1FF0028 020657BD
	v_cndmask_b32_e64 v47, v40, v42, s[48:49]                  // 000000005A20: D100002F 00C25528
	v_perm_b32 v174, v47, v46, s52                             // 000000005A28: D1ED00AE 00D25D2F
	v_cmp_u_f32_e64 s[48:49], v190, v190                       // 000000005A30: D0480030 00037DBE
	v_add3_u32 v40, v190, v43, 1                               // 000000005A38: D1FF0028 020657BE
	v_cndmask_b32_e64 v46, v40, v42, s[48:49]                  // 000000005A40: D100002E 00C25528
	v_cmp_u_f32_e64 s[48:49], v191, v191                       // 000000005A48: D0480030 00037FBF
	v_add3_u32 v40, v191, v43, 1                               // 000000005A50: D1FF0028 020657BF
	v_cndmask_b32_e64 v47, v40, v42, s[48:49]                  // 000000005A58: D100002F 00C25528
	v_perm_b32 v175, v47, v46, s52                             // 000000005A60: D1ED00AF 00D25D2F
	ds_write_b64 v3, v[160:161] offset:26880                   // 000000005A68: D89A6900 0000A003
	ds_write_b64 v3, v[162:163] offset:35584                   // 000000005A70: D89A8B00 0000A203
	ds_write_b64 v3, v[164:165] offset:29056                   // 000000005A78: D89A7180 0000A403
	ds_write_b64 v3, v[166:167] offset:37760                   // 000000005A80: D89A9380 0000A603
	ds_write_b64 v3, v[168:169] offset:31232                   // 000000005A88: D89A7A00 0000A803
	ds_write_b64 v3, v[170:171] offset:39936                   // 000000005A90: D89A9C00 0000AA03
	ds_write_b64 v3, v[172:173] offset:33408                   // 000000005A98: D89A8280 0000AC03
	ds_write_b64 v3, v[174:175] offset:42112                   // 000000005AA0: D89AA480 0000AE03
	s_waitcnt lgkmcnt(0)                                       // 000000005AA8: BF8CC07F
	s_barrier                                                  // 000000005AAC: BF8A0000
	ds_read_b32 v64, v4 offset:26880                           // 000000005AB0: D86C6900 40000004
	ds_read_b32 v65, v4 offset:31232                           // 000000005AB8: D86C7A00 41000004
	ds_read_b32 v66, v4 offset:26912                           // 000000005AC0: D86C6920 42000004
	ds_read_b32 v67, v4 offset:31264                           // 000000005AC8: D86C7A20 43000004
	ds_read_b32 v68, v4 offset:26944                           // 000000005AD0: D86C6940 44000004
	ds_read_b32 v69, v4 offset:31296                           // 000000005AD8: D86C7A40 45000004
	ds_read_b32 v70, v4 offset:26976                           // 000000005AE0: D86C6960 46000004
	ds_read_b32 v71, v4 offset:31328                           // 000000005AE8: D86C7A60 47000004
	ds_read_b32 v72, v4 offset:35584                           // 000000005AF0: D86C8B00 48000004
	ds_read_b32 v73, v4 offset:39936                           // 000000005AF8: D86C9C00 49000004
	ds_read_b32 v74, v4 offset:35616                           // 000000005B00: D86C8B20 4A000004
	ds_read_b32 v75, v4 offset:39968                           // 000000005B08: D86C9C20 4B000004
	ds_read_b32 v76, v4 offset:35648                           // 000000005B10: D86C8B40 4C000004
	ds_read_b32 v77, v4 offset:40000                           // 000000005B18: D86C9C40 4D000004
	ds_read_b32 v78, v4 offset:35680                           // 000000005B20: D86C8B60 4E000004
	ds_read_b32 v79, v4 offset:40032                           // 000000005B28: D86C9C60 4F000004
	s_waitcnt lgkmcnt(0)                                       // 000000005B30: BF8CC07F
	s_mov_b64 exec, s[20:21]                                   // 000000005B34: BEFE0114
	global_atomic_pk_add_bf16 v80, v64, s[8:9]                 // 000000005B38: DD488000 00084050
	s_mov_b64 exec, s[36:37]                                   // 000000005B40: BEFE0124
	s_mov_b64 exec, s[20:21]                                   // 000000005B44: BEFE0114
	global_atomic_pk_add_bf16 v80, v65, s[8:9] offset:256      // 000000005B48: DD488100 00084150
	s_mov_b64 exec, s[36:37]                                   // 000000005B50: BEFE0124
	s_mov_b64 exec, s[22:23]                                   // 000000005B54: BEFE0116
	global_atomic_pk_add_bf16 v82, v66, s[8:9]                 // 000000005B58: DD488000 00084252
	s_mov_b64 exec, s[36:37]                                   // 000000005B60: BEFE0124
	s_mov_b64 exec, s[22:23]                                   // 000000005B64: BEFE0116
	global_atomic_pk_add_bf16 v82, v67, s[8:9] offset:256      // 000000005B68: DD488100 00084352
	s_mov_b64 exec, s[36:37]                                   // 000000005B70: BEFE0124
	s_mov_b64 exec, s[24:25]                                   // 000000005B74: BEFE0118
	global_atomic_pk_add_bf16 v84, v68, s[8:9]                 // 000000005B78: DD488000 00084454
	s_mov_b64 exec, s[36:37]                                   // 000000005B80: BEFE0124
	s_mov_b64 exec, s[24:25]                                   // 000000005B84: BEFE0118
	global_atomic_pk_add_bf16 v84, v69, s[8:9] offset:256      // 000000005B88: DD488100 00084554
	s_mov_b64 exec, s[36:37]                                   // 000000005B90: BEFE0124
	s_mov_b64 exec, s[26:27]                                   // 000000005B94: BEFE011A
	global_atomic_pk_add_bf16 v86, v70, s[8:9]                 // 000000005B98: DD488000 00084656
	s_mov_b64 exec, s[36:37]                                   // 000000005BA0: BEFE0124
	s_mov_b64 exec, s[26:27]                                   // 000000005BA4: BEFE011A
	global_atomic_pk_add_bf16 v86, v71, s[8:9] offset:256      // 000000005BA8: DD488100 00084756
	s_mov_b64 exec, s[36:37]                                   // 000000005BB0: BEFE0124
	s_mov_b64 exec, s[28:29]                                   // 000000005BB4: BEFE011C
	global_atomic_pk_add_bf16 v88, v72, s[8:9]                 // 000000005BB8: DD488000 00084858
	s_mov_b64 exec, s[36:37]                                   // 000000005BC0: BEFE0124
	s_mov_b64 exec, s[28:29]                                   // 000000005BC4: BEFE011C
	global_atomic_pk_add_bf16 v88, v73, s[8:9] offset:256      // 000000005BC8: DD488100 00084958
	s_mov_b64 exec, s[36:37]                                   // 000000005BD0: BEFE0124
	s_mov_b64 exec, s[30:31]                                   // 000000005BD4: BEFE011E
	global_atomic_pk_add_bf16 v90, v74, s[8:9]                 // 000000005BD8: DD488000 00084A5A
	s_mov_b64 exec, s[36:37]                                   // 000000005BE0: BEFE0124
	s_mov_b64 exec, s[30:31]                                   // 000000005BE4: BEFE011E
	global_atomic_pk_add_bf16 v90, v75, s[8:9] offset:256      // 000000005BE8: DD488100 00084B5A
	s_mov_b64 exec, s[36:37]                                   // 000000005BF0: BEFE0124
	s_mov_b64 exec, s[32:33]                                   // 000000005BF4: BEFE0120
	global_atomic_pk_add_bf16 v92, v76, s[8:9]                 // 000000005BF8: DD488000 00084C5C
	s_mov_b64 exec, s[36:37]                                   // 000000005C00: BEFE0124
	s_mov_b64 exec, s[32:33]                                   // 000000005C04: BEFE0120
	global_atomic_pk_add_bf16 v92, v77, s[8:9] offset:256      // 000000005C08: DD488100 00084D5C
	s_mov_b64 exec, s[36:37]                                   // 000000005C10: BEFE0124
	s_mov_b64 exec, s[34:35]                                   // 000000005C14: BEFE0122
	global_atomic_pk_add_bf16 v94, v78, s[8:9]                 // 000000005C18: DD488000 00084E5E
	s_mov_b64 exec, s[36:37]                                   // 000000005C20: BEFE0124
	s_mov_b64 exec, s[34:35]                                   // 000000005C24: BEFE0122
	global_atomic_pk_add_bf16 v94, v79, s[8:9] offset:256      // 000000005C28: DD488100 00084F5E
	s_mov_b64 exec, s[36:37]                                   // 000000005C30: BEFE0124
	s_add_u32 s8, s59, s8                                      // 000000005C34: 8008083B
	s_addc_u32 s9, 0, s9                                       // 000000005C38: 82090980
	s_addk_i32 s80, 0x100                                      // 000000005C3C: B7500100
	s_cmp_lt_i32 s80, s81                                      // 000000005C40: BF045150
	s_cbranch_scc0 label_0E42                                  // 000000005C44: BF8402B0
	s_waitcnt vmcnt(29)                                        // 000000005C48: BF8C4F7D
	s_barrier                                                  // 000000005C4C: BF8A0000
	v_mfma_i32_16x16x32_i8 v[192:195], a[64:65], v[128:129], 0 // 000000005C50: D3D700C0 0A030140
	v_mfma_i32_16x16x32_i8 v[192:195], a[66:67], v[130:131], v[192:195]// 000000005C58: D3D700C0 0F030542
	buffer_load_dwordx4 a[0:3], v36, s[12:15], 0 offen         // 000000005C60: E05C1000 80830024
	v_mfma_i32_16x16x32_i8 v[196:199], a[64:65], v[144:145], 0 // 000000005C68: D3D700C4 0A032140
	v_mfma_i32_16x16x32_i8 v[196:199], a[66:67], v[146:147], v[196:199]// 000000005C70: D3D700C4 0F132542
	v_mfma_i32_16x16x32_i8 v[200:203], a[68:69], v[128:129], 0 // 000000005C78: D3D700C8 0A030144
	v_mfma_i32_16x16x32_i8 v[200:203], a[70:71], v[130:131], v[200:203]// 000000005C80: D3D700C8 0F230546
	buffer_load_dwordx4 a[4:7], v37, s[12:15], 0 offen         // 000000005C88: E05C1000 80830425
	v_mfma_i32_16x16x32_i8 v[204:207], a[68:69], v[144:145], 0 // 000000005C90: D3D700CC 0A032144
	v_mfma_i32_16x16x32_i8 v[204:207], a[70:71], v[146:147], v[204:207]// 000000005C98: D3D700CC 0F332546
	v_mfma_i32_16x16x32_i8 v[208:211], a[72:73], v[128:129], 0 // 000000005CA0: D3D700D0 0A030148
	v_mfma_i32_16x16x32_i8 v[208:211], a[74:75], v[130:131], v[208:211]// 000000005CA8: D3D700D0 0F43054A
	buffer_load_dwordx4 a[8:11], v38, s[12:15], 0 offen        // 000000005CB0: E05C1000 80830826
	v_mfma_i32_16x16x32_i8 v[212:215], a[72:73], v[144:145], 0 // 000000005CB8: D3D700D4 0A032148
	v_mfma_i32_16x16x32_i8 v[212:215], a[74:75], v[146:147], v[212:215]// 000000005CC0: D3D700D4 0F53254A
	v_mfma_i32_16x16x32_i8 v[216:219], a[76:77], v[128:129], 0 // 000000005CC8: D3D700D8 0A03014C
	v_mfma_i32_16x16x32_i8 v[216:219], a[78:79], v[130:131], v[216:219]// 000000005CD0: D3D700D8 0F63054E
	buffer_load_dwordx4 a[12:15], v39, s[12:15], 0 offen       // 000000005CD8: E05C1000 80830C27
	s_add_u32 s12, s78, s12                                    // 000000005CE0: 800C0C4E
	s_addc_u32 s13, 0, s13                                     // 000000005CE4: 820D0D80
	v_mfma_i32_16x16x32_i8 v[220:223], a[76:77], v[144:145], 0 // 000000005CE8: D3D700DC 0A03214C
	v_mfma_i32_16x16x32_i8 v[220:223], a[78:79], v[146:147], v[220:223]// 000000005CF0: D3D700DC 0F73254E
	s_waitcnt vmcnt(29)                                        // 000000005CF8: BF8C4F7D
	v_mfma_i32_16x16x32_i8 v[192:195], a[80:81], v[132:133], v[192:195]// 000000005CFC: D3D700C0 0F030950
	v_mfma_i32_16x16x32_i8 v[192:195], a[82:83], v[134:135], v[192:195]// 000000005D04: D3D700C0 0F030D52
	buffer_load_dwordx4 a[16:19], v36, s[12:15], 0 offen       // 000000005D0C: E05C1000 80831024
	v_mfma_i32_16x16x32_i8 v[196:199], a[80:81], v[148:149], v[196:199]// 000000005D14: D3D700C4 0F132950
	v_mfma_i32_16x16x32_i8 v[196:199], a[82:83], v[150:151], v[196:199]// 000000005D1C: D3D700C4 0F132D52
	v_mfma_i32_16x16x32_i8 v[200:203], a[84:85], v[132:133], v[200:203]// 000000005D24: D3D700C8 0F230954
	v_mfma_i32_16x16x32_i8 v[200:203], a[86:87], v[134:135], v[200:203]// 000000005D2C: D3D700C8 0F230D56
	buffer_load_dwordx4 a[20:23], v37, s[12:15], 0 offen       // 000000005D34: E05C1000 80831425
	v_mfma_i32_16x16x32_i8 v[204:207], a[84:85], v[148:149], v[204:207]// 000000005D3C: D3D700CC 0F332954
	v_mfma_i32_16x16x32_i8 v[204:207], a[86:87], v[150:151], v[204:207]// 000000005D44: D3D700CC 0F332D56
	v_mfma_i32_16x16x32_i8 v[208:211], a[88:89], v[132:133], v[208:211]// 000000005D4C: D3D700D0 0F430958
	v_mfma_i32_16x16x32_i8 v[208:211], a[90:91], v[134:135], v[208:211]// 000000005D54: D3D700D0 0F430D5A
	buffer_load_dwordx4 a[24:27], v38, s[12:15], 0 offen       // 000000005D5C: E05C1000 80831826
	v_mfma_i32_16x16x32_i8 v[212:215], a[88:89], v[148:149], v[212:215]// 000000005D64: D3D700D4 0F532958
	v_mfma_i32_16x16x32_i8 v[212:215], a[90:91], v[150:151], v[212:215]// 000000005D6C: D3D700D4 0F532D5A
	v_mfma_i32_16x16x32_i8 v[216:219], a[92:93], v[132:133], v[216:219]// 000000005D74: D3D700D8 0F63095C
	v_mfma_i32_16x16x32_i8 v[216:219], a[94:95], v[134:135], v[216:219]// 000000005D7C: D3D700D8 0F630D5E
	buffer_load_dwordx4 a[28:31], v39, s[12:15], 0 offen       // 000000005D84: E05C1000 80831C27
	s_add_u32 s12, s78, s12                                    // 000000005D8C: 800C0C4E
	s_addc_u32 s13, 0, s13                                     // 000000005D90: 820D0D80
	v_mfma_i32_16x16x32_i8 v[220:223], a[92:93], v[148:149], v[220:223]// 000000005D94: D3D700DC 0F73295C
	v_mfma_i32_16x16x32_i8 v[220:223], a[94:95], v[150:151], v[220:223]// 000000005D9C: D3D700DC 0F732D5E
	s_waitcnt vmcnt(29)                                        // 000000005DA4: BF8C4F7D
	v_mfma_i32_16x16x32_i8 v[192:195], a[96:97], v[136:137], v[192:195]// 000000005DA8: D3D700C0 0F031160
	v_mfma_i32_16x16x32_i8 v[192:195], a[98:99], v[138:139], v[192:195]// 000000005DB0: D3D700C0 0F031562
	buffer_load_dwordx4 a[32:35], v36, s[12:15], 0 offen       // 000000005DB8: E05C1000 80832024
	v_mfma_i32_16x16x32_i8 v[196:199], a[96:97], v[152:153], v[196:199]// 000000005DC0: D3D700C4 0F133160
	v_mfma_i32_16x16x32_i8 v[196:199], a[98:99], v[154:155], v[196:199]// 000000005DC8: D3D700C4 0F133562
	v_mfma_i32_16x16x32_i8 v[200:203], a[100:101], v[136:137], v[200:203]// 000000005DD0: D3D700C8 0F231164
	v_mfma_i32_16x16x32_i8 v[200:203], a[102:103], v[138:139], v[200:203]// 000000005DD8: D3D700C8 0F231566
	buffer_load_dwordx4 a[36:39], v37, s[12:15], 0 offen       // 000000005DE0: E05C1000 80832425
	v_mfma_i32_16x16x32_i8 v[204:207], a[100:101], v[152:153], v[204:207]// 000000005DE8: D3D700CC 0F333164
	v_mfma_i32_16x16x32_i8 v[204:207], a[102:103], v[154:155], v[204:207]// 000000005DF0: D3D700CC 0F333566
	v_mfma_i32_16x16x32_i8 v[208:211], a[104:105], v[136:137], v[208:211]// 000000005DF8: D3D700D0 0F431168
	v_mfma_i32_16x16x32_i8 v[208:211], a[106:107], v[138:139], v[208:211]// 000000005E00: D3D700D0 0F43156A
	buffer_load_dwordx4 a[40:43], v38, s[12:15], 0 offen       // 000000005E08: E05C1000 80832826
	v_mfma_i32_16x16x32_i8 v[212:215], a[104:105], v[152:153], v[212:215]// 000000005E10: D3D700D4 0F533168
	v_mfma_i32_16x16x32_i8 v[212:215], a[106:107], v[154:155], v[212:215]// 000000005E18: D3D700D4 0F53356A
	v_mfma_i32_16x16x32_i8 v[216:219], a[108:109], v[136:137], v[216:219]// 000000005E20: D3D700D8 0F63116C
	v_mfma_i32_16x16x32_i8 v[216:219], a[110:111], v[138:139], v[216:219]// 000000005E28: D3D700D8 0F63156E
	buffer_load_dwordx4 a[44:47], v39, s[12:15], 0 offen       // 000000005E30: E05C1000 80832C27
	s_add_u32 s12, s78, s12                                    // 000000005E38: 800C0C4E
	s_addc_u32 s13, 0, s13                                     // 000000005E3C: 820D0D80
	v_mfma_i32_16x16x32_i8 v[220:223], a[108:109], v[152:153], v[220:223]// 000000005E40: D3D700DC 0F73316C
	v_mfma_i32_16x16x32_i8 v[220:223], a[110:111], v[154:155], v[220:223]// 000000005E48: D3D700DC 0F73356E
	s_waitcnt vmcnt(28)                                        // 000000005E50: BF8C4F7C
	v_mfma_i32_16x16x32_i8 v[192:195], a[112:113], v[140:141], v[192:195]// 000000005E54: D3D700C0 0F031970
	v_mfma_i32_16x16x32_i8 v[192:195], a[114:115], v[142:143], v[192:195]// 000000005E5C: D3D700C0 0F031D72
	buffer_load_dwordx4 a[48:51], v36, s[12:15], 0 offen       // 000000005E64: E05C1000 80833024
	v_mfma_i32_16x16x32_i8 v[196:199], a[112:113], v[156:157], v[196:199]// 000000005E6C: D3D700C4 0F133970
	v_mfma_i32_16x16x32_i8 v[196:199], a[114:115], v[158:159], v[196:199]// 000000005E74: D3D700C4 0F133D72
	buffer_load_dword v11, v5, s[16:19], 0 offen               // 000000005E7C: E0501000 80040B05
	v_mfma_i32_16x16x32_i8 v[200:203], a[116:117], v[140:141], v[200:203]// 000000005E84: D3D700C8 0F231974
	v_mfma_i32_16x16x32_i8 v[200:203], a[118:119], v[142:143], v[200:203]// 000000005E8C: D3D700C8 0F231D76
	buffer_load_dwordx4 a[52:55], v37, s[12:15], 0 offen       // 000000005E94: E05C1000 80833425
	v_mfma_i32_16x16x32_i8 v[204:207], a[116:117], v[156:157], v[204:207]// 000000005E9C: D3D700CC 0F333974
	v_mfma_i32_16x16x32_i8 v[204:207], a[118:119], v[158:159], v[204:207]// 000000005EA4: D3D700CC 0F333D76
	v_mfma_i32_16x16x32_i8 v[208:211], a[120:121], v[140:141], v[208:211]// 000000005EAC: D3D700D0 0F431978
	v_mfma_i32_16x16x32_i8 v[208:211], a[122:123], v[142:143], v[208:211]// 000000005EB4: D3D700D0 0F431D7A
	buffer_load_dwordx4 a[56:59], v38, s[12:15], 0 offen       // 000000005EBC: E05C1000 80833826
	v_mfma_i32_16x16x32_i8 v[212:215], a[120:121], v[156:157], v[212:215]// 000000005EC4: D3D700D4 0F533978
	v_mfma_i32_16x16x32_i8 v[212:215], a[122:123], v[158:159], v[212:215]// 000000005ECC: D3D700D4 0F533D7A
	v_mfma_i32_16x16x32_i8 v[216:219], a[124:125], v[140:141], v[216:219]// 000000005ED4: D3D700D8 0F63197C
	v_mfma_i32_16x16x32_i8 v[216:219], a[126:127], v[142:143], v[216:219]// 000000005EDC: D3D700D8 0F631D7E
	buffer_load_dwordx4 a[60:63], v39, s[12:15], 0 offen       // 000000005EE4: E05C1000 80833C27
	v_mfma_i32_16x16x32_i8 v[220:223], a[124:125], v[156:157], v[220:223]// 000000005EEC: D3D700DC 0F73397C
	v_mfma_i32_16x16x32_i8 v[220:223], a[126:127], v[158:159], v[220:223]// 000000005EF4: D3D700DC 0F733D7E
	s_add_u32 s60, 0x200, s80                                  // 000000005EFC: 803C50FF 00000200
	s_cmp_lt_u32 s60, s81                                      // 000000005F04: BF0A513C
	s_cselect_b32 s56, s56, 0                                  // 000000005F08: 85388038
	s_cselect_b32 s78, s78, 0                                  // 000000005F0C: 854E804E
	s_cselect_b32 s79, s79, 0                                  // 000000005F10: 854F804F
	s_add_u32 s12, s56, s12                                    // 000000005F14: 800C0C38
	s_addc_u32 s13, 0, s13                                     // 000000005F18: 820D0D80
	s_add_u32 s16, s79, s16                                    // 000000005F1C: 8010104F
	s_addc_u32 s17, 0, s17                                     // 000000005F20: 82111180
	v_cvt_f32_i32_e32 v192, v192                               // 000000005F24: 7F800BC0
	v_cvt_f32_i32_e32 v193, v193                               // 000000005F28: 7F820BC1
	v_cvt_f32_i32_e32 v194, v194                               // 000000005F2C: 7F840BC2
	v_cvt_f32_i32_e32 v195, v195                               // 000000005F30: 7F860BC3
	v_mul_f32_e32 v192, v22, v192                              // 000000005F34: 0B818116
	v_mul_f32_e32 v193, v22, v193                              // 000000005F38: 0B838316
	v_mul_f32_e32 v194, v22, v194                              // 000000005F3C: 0B858516
	v_mul_f32_e32 v195, v22, v195                              // 000000005F40: 0B878716
	v_mul_f32_dpp v192, v12, v192 row_newbcast:0 row_mask:0xf bank_mask:0xf// 000000005F44: 0B8180FA FF01500C
	v_mul_f32_dpp v193, v12, v193 row_newbcast:1 row_mask:0xf bank_mask:0xf// 000000005F4C: 0B8382FA FF01510C
	v_mul_f32_dpp v194, v12, v194 row_newbcast:2 row_mask:0xf bank_mask:0xf// 000000005F54: 0B8584FA FF01520C
	v_mul_f32_dpp v195, v12, v195 row_newbcast:3 row_mask:0xf bank_mask:0xf// 000000005F5C: 0B8786FA FF01530C
	v_mul_f32_e32 v192, v17, v192                              // 000000005F64: 0B818111
	v_mul_f32_e32 v193, v17, v193                              // 000000005F68: 0B838311
	v_mul_f32_e32 v194, v17, v194                              // 000000005F6C: 0B858511
	v_mul_f32_e32 v195, v17, v195                              // 000000005F70: 0B878711
	v_cvt_f32_i32_e32 v196, v196                               // 000000005F74: 7F880BC4
	v_cvt_f32_i32_e32 v197, v197                               // 000000005F78: 7F8A0BC5
	v_cvt_f32_i32_e32 v198, v198                               // 000000005F7C: 7F8C0BC6
	v_cvt_f32_i32_e32 v199, v199                               // 000000005F80: 7F8E0BC7
	v_mul_f32_e32 v196, v23, v196                              // 000000005F84: 0B898917
	v_mul_f32_e32 v197, v23, v197                              // 000000005F88: 0B8B8B17
	v_mul_f32_e32 v198, v23, v198                              // 000000005F8C: 0B8D8D17
	v_mul_f32_e32 v199, v23, v199                              // 000000005F90: 0B8F8F17
	v_mul_f32_dpp v196, v12, v196 row_newbcast:0 row_mask:0xf bank_mask:0xf// 000000005F94: 0B8988FA FF01500C
	v_mul_f32_dpp v197, v12, v197 row_newbcast:1 row_mask:0xf bank_mask:0xf// 000000005F9C: 0B8B8AFA FF01510C
	v_mul_f32_dpp v198, v12, v198 row_newbcast:2 row_mask:0xf bank_mask:0xf// 000000005FA4: 0B8D8CFA FF01520C
	v_mul_f32_dpp v199, v12, v199 row_newbcast:3 row_mask:0xf bank_mask:0xf// 000000005FAC: 0B8F8EFA FF01530C
	v_mul_f32_e32 v196, v18, v196                              // 000000005FB4: 0B898912
	v_mul_f32_e32 v197, v18, v197                              // 000000005FB8: 0B8B8B12
	v_mul_f32_e32 v198, v18, v198                              // 000000005FBC: 0B8D8D12
	v_mul_f32_e32 v199, v18, v199                              // 000000005FC0: 0B8F8F12
	v_cvt_f32_i32_e32 v200, v200                               // 000000005FC4: 7F900BC8
	v_cvt_f32_i32_e32 v201, v201                               // 000000005FC8: 7F920BC9
	v_cvt_f32_i32_e32 v202, v202                               // 000000005FCC: 7F940BCA
	v_cvt_f32_i32_e32 v203, v203                               // 000000005FD0: 7F960BCB
	v_mul_f32_e32 v200, v22, v200                              // 000000005FD4: 0B919116
	v_mul_f32_e32 v201, v22, v201                              // 000000005FD8: 0B939316
	v_mul_f32_e32 v202, v22, v202                              // 000000005FDC: 0B959516
	v_mul_f32_e32 v203, v22, v203                              // 000000005FE0: 0B979716
	v_mul_f32_dpp v200, v12, v200 row_newbcast:4 row_mask:0xf bank_mask:0xf// 000000005FE4: 0B9190FA FF01540C
	v_mul_f32_dpp v201, v12, v201 row_newbcast:5 row_mask:0xf bank_mask:0xf// 000000005FEC: 0B9392FA FF01550C
	v_mul_f32_dpp v202, v12, v202 row_newbcast:6 row_mask:0xf bank_mask:0xf// 000000005FF4: 0B9594FA FF01560C
	v_mul_f32_dpp v203, v12, v203 row_newbcast:7 row_mask:0xf bank_mask:0xf// 000000005FFC: 0B9796FA FF01570C
	v_mul_f32_e32 v200, v17, v200                              // 000000006004: 0B919111
	v_mul_f32_e32 v201, v17, v201                              // 000000006008: 0B939311
	v_mul_f32_e32 v202, v17, v202                              // 00000000600C: 0B959511
	v_mul_f32_e32 v203, v17, v203                              // 000000006010: 0B979711
	v_cvt_f32_i32_e32 v204, v204                               // 000000006014: 7F980BCC
	v_cvt_f32_i32_e32 v205, v205                               // 000000006018: 7F9A0BCD
	v_cvt_f32_i32_e32 v206, v206                               // 00000000601C: 7F9C0BCE
	v_cvt_f32_i32_e32 v207, v207                               // 000000006020: 7F9E0BCF
	v_mul_f32_e32 v204, v23, v204                              // 000000006024: 0B999917
	v_mul_f32_e32 v205, v23, v205                              // 000000006028: 0B9B9B17
	v_mul_f32_e32 v206, v23, v206                              // 00000000602C: 0B9D9D17
	v_mul_f32_e32 v207, v23, v207                              // 000000006030: 0B9F9F17
	v_mul_f32_dpp v204, v12, v204 row_newbcast:4 row_mask:0xf bank_mask:0xf// 000000006034: 0B9998FA FF01540C
	v_mul_f32_dpp v205, v12, v205 row_newbcast:5 row_mask:0xf bank_mask:0xf// 00000000603C: 0B9B9AFA FF01550C
	v_mul_f32_dpp v206, v12, v206 row_newbcast:6 row_mask:0xf bank_mask:0xf// 000000006044: 0B9D9CFA FF01560C
	v_mul_f32_dpp v207, v12, v207 row_newbcast:7 row_mask:0xf bank_mask:0xf// 00000000604C: 0B9F9EFA FF01570C
	v_mul_f32_e32 v204, v18, v204                              // 000000006054: 0B999912
	v_mul_f32_e32 v205, v18, v205                              // 000000006058: 0B9B9B12
	v_mul_f32_e32 v206, v18, v206                              // 00000000605C: 0B9D9D12
	v_mul_f32_e32 v207, v18, v207                              // 000000006060: 0B9F9F12
	v_cvt_f32_i32_e32 v208, v208                               // 000000006064: 7FA00BD0
	v_cvt_f32_i32_e32 v209, v209                               // 000000006068: 7FA20BD1
	v_cvt_f32_i32_e32 v210, v210                               // 00000000606C: 7FA40BD2
	v_cvt_f32_i32_e32 v211, v211                               // 000000006070: 7FA60BD3
	v_mul_f32_e32 v208, v22, v208                              // 000000006074: 0BA1A116
	v_mul_f32_e32 v209, v22, v209                              // 000000006078: 0BA3A316
	v_mul_f32_e32 v210, v22, v210                              // 00000000607C: 0BA5A516
	v_mul_f32_e32 v211, v22, v211                              // 000000006080: 0BA7A716
	v_mul_f32_dpp v208, v12, v208 row_newbcast:8 row_mask:0xf bank_mask:0xf// 000000006084: 0BA1A0FA FF01580C
	v_mul_f32_dpp v209, v12, v209 row_newbcast:9 row_mask:0xf bank_mask:0xf// 00000000608C: 0BA3A2FA FF01590C
	v_mul_f32_dpp v210, v12, v210 row_newbcast:10 row_mask:0xf bank_mask:0xf// 000000006094: 0BA5A4FA FF015A0C
	v_mul_f32_dpp v211, v12, v211 row_newbcast:11 row_mask:0xf bank_mask:0xf// 00000000609C: 0BA7A6FA FF015B0C
	v_mul_f32_e32 v208, v17, v208                              // 0000000060A4: 0BA1A111
	v_mul_f32_e32 v209, v17, v209                              // 0000000060A8: 0BA3A311
	v_mul_f32_e32 v210, v17, v210                              // 0000000060AC: 0BA5A511
	v_mul_f32_e32 v211, v17, v211                              // 0000000060B0: 0BA7A711
	v_cvt_f32_i32_e32 v212, v212                               // 0000000060B4: 7FA80BD4
	v_cvt_f32_i32_e32 v213, v213                               // 0000000060B8: 7FAA0BD5
	v_cvt_f32_i32_e32 v214, v214                               // 0000000060BC: 7FAC0BD6
	v_cvt_f32_i32_e32 v215, v215                               // 0000000060C0: 7FAE0BD7
	v_mul_f32_e32 v212, v23, v212                              // 0000000060C4: 0BA9A917
	v_mul_f32_e32 v213, v23, v213                              // 0000000060C8: 0BABAB17
	v_mul_f32_e32 v214, v23, v214                              // 0000000060CC: 0BADAD17
	v_mul_f32_e32 v215, v23, v215                              // 0000000060D0: 0BAFAF17
	v_mul_f32_dpp v212, v12, v212 row_newbcast:8 row_mask:0xf bank_mask:0xf// 0000000060D4: 0BA9A8FA FF01580C
	v_mul_f32_dpp v213, v12, v213 row_newbcast:9 row_mask:0xf bank_mask:0xf// 0000000060DC: 0BABAAFA FF01590C
	v_mul_f32_dpp v214, v12, v214 row_newbcast:10 row_mask:0xf bank_mask:0xf// 0000000060E4: 0BADACFA FF015A0C
	v_mul_f32_dpp v215, v12, v215 row_newbcast:11 row_mask:0xf bank_mask:0xf// 0000000060EC: 0BAFAEFA FF015B0C
	v_mul_f32_e32 v212, v18, v212                              // 0000000060F4: 0BA9A912
	v_mul_f32_e32 v213, v18, v213                              // 0000000060F8: 0BABAB12
	v_mul_f32_e32 v214, v18, v214                              // 0000000060FC: 0BADAD12
	v_mul_f32_e32 v215, v18, v215                              // 000000006100: 0BAFAF12
	v_cvt_f32_i32_e32 v216, v216                               // 000000006104: 7FB00BD8
	v_cvt_f32_i32_e32 v217, v217                               // 000000006108: 7FB20BD9
	v_cvt_f32_i32_e32 v218, v218                               // 00000000610C: 7FB40BDA
	v_cvt_f32_i32_e32 v219, v219                               // 000000006110: 7FB60BDB
	v_mul_f32_e32 v216, v22, v216                              // 000000006114: 0BB1B116
	v_mul_f32_e32 v217, v22, v217                              // 000000006118: 0BB3B316
	v_mul_f32_e32 v218, v22, v218                              // 00000000611C: 0BB5B516
	v_mul_f32_e32 v219, v22, v219                              // 000000006120: 0BB7B716
	v_mul_f32_dpp v216, v12, v216 row_newbcast:12 row_mask:0xf bank_mask:0xf// 000000006124: 0BB1B0FA FF015C0C
	v_mul_f32_dpp v217, v12, v217 row_newbcast:13 row_mask:0xf bank_mask:0xf// 00000000612C: 0BB3B2FA FF015D0C
	v_mul_f32_dpp v218, v12, v218 row_newbcast:14 row_mask:0xf bank_mask:0xf// 000000006134: 0BB5B4FA FF015E0C
	v_mul_f32_dpp v219, v12, v219 row_newbcast:15 row_mask:0xf bank_mask:0xf// 00000000613C: 0BB7B6FA FF015F0C
	v_mul_f32_e32 v216, v17, v216                              // 000000006144: 0BB1B111
	v_mul_f32_e32 v217, v17, v217                              // 000000006148: 0BB3B311
	v_mul_f32_e32 v218, v17, v218                              // 00000000614C: 0BB5B511
	v_mul_f32_e32 v219, v17, v219                              // 000000006150: 0BB7B711
	v_cvt_f32_i32_e32 v220, v220                               // 000000006154: 7FB80BDC
	v_cvt_f32_i32_e32 v221, v221                               // 000000006158: 7FBA0BDD
	v_cvt_f32_i32_e32 v222, v222                               // 00000000615C: 7FBC0BDE
	v_cvt_f32_i32_e32 v223, v223                               // 000000006160: 7FBE0BDF
	v_mul_f32_e32 v220, v23, v220                              // 000000006164: 0BB9B917
	v_mul_f32_e32 v221, v23, v221                              // 000000006168: 0BBBBB17
	v_mul_f32_e32 v222, v23, v222                              // 00000000616C: 0BBDBD17
	v_mul_f32_e32 v223, v23, v223                              // 000000006170: 0BBFBF17
	v_mul_f32_dpp v220, v12, v220 row_newbcast:12 row_mask:0xf bank_mask:0xf// 000000006174: 0BB9B8FA FF015C0C
	v_mul_f32_dpp v221, v12, v221 row_newbcast:13 row_mask:0xf bank_mask:0xf// 00000000617C: 0BBBBAFA FF015D0C
	v_mul_f32_dpp v222, v12, v222 row_newbcast:14 row_mask:0xf bank_mask:0xf// 000000006184: 0BBDBCFA FF015E0C
	v_mul_f32_dpp v223, v12, v223 row_newbcast:15 row_mask:0xf bank_mask:0xf// 00000000618C: 0BBFBEFA FF015F0C
	v_mul_f32_e32 v220, v18, v220                              // 000000006194: 0BB9B912
	v_mul_f32_e32 v221, v18, v221                              // 000000006198: 0BBBBB12
	v_mul_f32_e32 v222, v18, v222                              // 00000000619C: 0BBDBD12
	v_mul_f32_e32 v223, v18, v223                              // 0000000061A0: 0BBFBF12
	v_cmp_u_f32_e64 s[48:49], v192, v192                       // 0000000061A4: D0480030 000381C0
	v_add3_u32 v40, v192, v43, 1                               // 0000000061AC: D1FF0028 020657C0
	v_cndmask_b32_e64 v46, v40, v42, s[48:49]                  // 0000000061B4: D100002E 00C25528
	v_cmp_u_f32_e64 s[48:49], v193, v193                       // 0000000061BC: D0480030 000383C1
	v_add3_u32 v40, v193, v43, 1                               // 0000000061C4: D1FF0028 020657C1
	v_cndmask_b32_e64 v47, v40, v42, s[48:49]                  // 0000000061CC: D100002F 00C25528
	v_perm_b32 v192, v47, v46, s52                             // 0000000061D4: D1ED00C0 00D25D2F
	v_cmp_u_f32_e64 s[48:49], v194, v194                       // 0000000061DC: D0480030 000385C2
	v_add3_u32 v40, v194, v43, 1                               // 0000000061E4: D1FF0028 020657C2
	v_cndmask_b32_e64 v46, v40, v42, s[48:49]                  // 0000000061EC: D100002E 00C25528
	v_cmp_u_f32_e64 s[48:49], v195, v195                       // 0000000061F4: D0480030 000387C3
	v_add3_u32 v40, v195, v43, 1                               // 0000000061FC: D1FF0028 020657C3
	v_cndmask_b32_e64 v47, v40, v42, s[48:49]                  // 000000006204: D100002F 00C25528
	v_perm_b32 v193, v47, v46, s52                             // 00000000620C: D1ED00C1 00D25D2F
	v_cmp_u_f32_e64 s[48:49], v196, v196                       // 000000006214: D0480030 000389C4
	v_add3_u32 v40, v196, v43, 1                               // 00000000621C: D1FF0028 020657C4
	v_cndmask_b32_e64 v46, v40, v42, s[48:49]                  // 000000006224: D100002E 00C25528
	v_cmp_u_f32_e64 s[48:49], v197, v197                       // 00000000622C: D0480030 00038BC5
	v_add3_u32 v40, v197, v43, 1                               // 000000006234: D1FF0028 020657C5
	v_cndmask_b32_e64 v47, v40, v42, s[48:49]                  // 00000000623C: D100002F 00C25528
	v_perm_b32 v194, v47, v46, s52                             // 000000006244: D1ED00C2 00D25D2F
	v_cmp_u_f32_e64 s[48:49], v198, v198                       // 00000000624C: D0480030 00038DC6
	v_add3_u32 v40, v198, v43, 1                               // 000000006254: D1FF0028 020657C6
	v_cndmask_b32_e64 v46, v40, v42, s[48:49]                  // 00000000625C: D100002E 00C25528
	v_cmp_u_f32_e64 s[48:49], v199, v199                       // 000000006264: D0480030 00038FC7
	v_add3_u32 v40, v199, v43, 1                               // 00000000626C: D1FF0028 020657C7
	v_cndmask_b32_e64 v47, v40, v42, s[48:49]                  // 000000006274: D100002F 00C25528
	v_perm_b32 v195, v47, v46, s52                             // 00000000627C: D1ED00C3 00D25D2F
	v_cmp_u_f32_e64 s[48:49], v200, v200                       // 000000006284: D0480030 000391C8
	v_add3_u32 v40, v200, v43, 1                               // 00000000628C: D1FF0028 020657C8
	v_cndmask_b32_e64 v46, v40, v42, s[48:49]                  // 000000006294: D100002E 00C25528
	v_cmp_u_f32_e64 s[48:49], v201, v201                       // 00000000629C: D0480030 000393C9
	v_add3_u32 v40, v201, v43, 1                               // 0000000062A4: D1FF0028 020657C9
	v_cndmask_b32_e64 v47, v40, v42, s[48:49]                  // 0000000062AC: D100002F 00C25528
	v_perm_b32 v196, v47, v46, s52                             // 0000000062B4: D1ED00C4 00D25D2F
	v_cmp_u_f32_e64 s[48:49], v202, v202                       // 0000000062BC: D0480030 000395CA
	v_add3_u32 v40, v202, v43, 1                               // 0000000062C4: D1FF0028 020657CA
	v_cndmask_b32_e64 v46, v40, v42, s[48:49]                  // 0000000062CC: D100002E 00C25528
	v_cmp_u_f32_e64 s[48:49], v203, v203                       // 0000000062D4: D0480030 000397CB
	v_add3_u32 v40, v203, v43, 1                               // 0000000062DC: D1FF0028 020657CB
	v_cndmask_b32_e64 v47, v40, v42, s[48:49]                  // 0000000062E4: D100002F 00C25528
	v_perm_b32 v197, v47, v46, s52                             // 0000000062EC: D1ED00C5 00D25D2F
	v_cmp_u_f32_e64 s[48:49], v204, v204                       // 0000000062F4: D0480030 000399CC
	v_add3_u32 v40, v204, v43, 1                               // 0000000062FC: D1FF0028 020657CC
	v_cndmask_b32_e64 v46, v40, v42, s[48:49]                  // 000000006304: D100002E 00C25528
	v_cmp_u_f32_e64 s[48:49], v205, v205                       // 00000000630C: D0480030 00039BCD
	v_add3_u32 v40, v205, v43, 1                               // 000000006314: D1FF0028 020657CD
	v_cndmask_b32_e64 v47, v40, v42, s[48:49]                  // 00000000631C: D100002F 00C25528
	v_perm_b32 v198, v47, v46, s52                             // 000000006324: D1ED00C6 00D25D2F
	v_cmp_u_f32_e64 s[48:49], v206, v206                       // 00000000632C: D0480030 00039DCE
	v_add3_u32 v40, v206, v43, 1                               // 000000006334: D1FF0028 020657CE
	v_cndmask_b32_e64 v46, v40, v42, s[48:49]                  // 00000000633C: D100002E 00C25528
	v_cmp_u_f32_e64 s[48:49], v207, v207                       // 000000006344: D0480030 00039FCF
	v_add3_u32 v40, v207, v43, 1                               // 00000000634C: D1FF0028 020657CF
	v_cndmask_b32_e64 v47, v40, v42, s[48:49]                  // 000000006354: D100002F 00C25528
	v_perm_b32 v199, v47, v46, s52                             // 00000000635C: D1ED00C7 00D25D2F
	v_cmp_u_f32_e64 s[48:49], v208, v208                       // 000000006364: D0480030 0003A1D0
	v_add3_u32 v40, v208, v43, 1                               // 00000000636C: D1FF0028 020657D0
	v_cndmask_b32_e64 v46, v40, v42, s[48:49]                  // 000000006374: D100002E 00C25528
	v_cmp_u_f32_e64 s[48:49], v209, v209                       // 00000000637C: D0480030 0003A3D1
	v_add3_u32 v40, v209, v43, 1                               // 000000006384: D1FF0028 020657D1
	v_cndmask_b32_e64 v47, v40, v42, s[48:49]                  // 00000000638C: D100002F 00C25528
	v_perm_b32 v200, v47, v46, s52                             // 000000006394: D1ED00C8 00D25D2F
	v_cmp_u_f32_e64 s[48:49], v210, v210                       // 00000000639C: D0480030 0003A5D2
	v_add3_u32 v40, v210, v43, 1                               // 0000000063A4: D1FF0028 020657D2
	v_cndmask_b32_e64 v46, v40, v42, s[48:49]                  // 0000000063AC: D100002E 00C25528
	v_cmp_u_f32_e64 s[48:49], v211, v211                       // 0000000063B4: D0480030 0003A7D3
	v_add3_u32 v40, v211, v43, 1                               // 0000000063BC: D1FF0028 020657D3
	v_cndmask_b32_e64 v47, v40, v42, s[48:49]                  // 0000000063C4: D100002F 00C25528
	v_perm_b32 v201, v47, v46, s52                             // 0000000063CC: D1ED00C9 00D25D2F
	v_cmp_u_f32_e64 s[48:49], v212, v212                       // 0000000063D4: D0480030 0003A9D4
	v_add3_u32 v40, v212, v43, 1                               // 0000000063DC: D1FF0028 020657D4
	v_cndmask_b32_e64 v46, v40, v42, s[48:49]                  // 0000000063E4: D100002E 00C25528
	v_cmp_u_f32_e64 s[48:49], v213, v213                       // 0000000063EC: D0480030 0003ABD5
	v_add3_u32 v40, v213, v43, 1                               // 0000000063F4: D1FF0028 020657D5
	v_cndmask_b32_e64 v47, v40, v42, s[48:49]                  // 0000000063FC: D100002F 00C25528
	v_perm_b32 v202, v47, v46, s52                             // 000000006404: D1ED00CA 00D25D2F
	v_cmp_u_f32_e64 s[48:49], v214, v214                       // 00000000640C: D0480030 0003ADD6
	v_add3_u32 v40, v214, v43, 1                               // 000000006414: D1FF0028 020657D6
	v_cndmask_b32_e64 v46, v40, v42, s[48:49]                  // 00000000641C: D100002E 00C25528
	v_cmp_u_f32_e64 s[48:49], v215, v215                       // 000000006424: D0480030 0003AFD7
	v_add3_u32 v40, v215, v43, 1                               // 00000000642C: D1FF0028 020657D7
	v_cndmask_b32_e64 v47, v40, v42, s[48:49]                  // 000000006434: D100002F 00C25528
	v_perm_b32 v203, v47, v46, s52                             // 00000000643C: D1ED00CB 00D25D2F
	v_cmp_u_f32_e64 s[48:49], v216, v216                       // 000000006444: D0480030 0003B1D8
	v_add3_u32 v40, v216, v43, 1                               // 00000000644C: D1FF0028 020657D8
	v_cndmask_b32_e64 v46, v40, v42, s[48:49]                  // 000000006454: D100002E 00C25528
	v_cmp_u_f32_e64 s[48:49], v217, v217                       // 00000000645C: D0480030 0003B3D9
	v_add3_u32 v40, v217, v43, 1                               // 000000006464: D1FF0028 020657D9
	v_cndmask_b32_e64 v47, v40, v42, s[48:49]                  // 00000000646C: D100002F 00C25528
	v_perm_b32 v204, v47, v46, s52                             // 000000006474: D1ED00CC 00D25D2F
	v_cmp_u_f32_e64 s[48:49], v218, v218                       // 00000000647C: D0480030 0003B5DA
	v_add3_u32 v40, v218, v43, 1                               // 000000006484: D1FF0028 020657DA
	v_cndmask_b32_e64 v46, v40, v42, s[48:49]                  // 00000000648C: D100002E 00C25528
	v_cmp_u_f32_e64 s[48:49], v219, v219                       // 000000006494: D0480030 0003B7DB
	v_add3_u32 v40, v219, v43, 1                               // 00000000649C: D1FF0028 020657DB
	v_cndmask_b32_e64 v47, v40, v42, s[48:49]                  // 0000000064A4: D100002F 00C25528
	v_perm_b32 v205, v47, v46, s52                             // 0000000064AC: D1ED00CD 00D25D2F
	v_cmp_u_f32_e64 s[48:49], v220, v220                       // 0000000064B4: D0480030 0003B9DC
	v_add3_u32 v40, v220, v43, 1                               // 0000000064BC: D1FF0028 020657DC
	v_cndmask_b32_e64 v46, v40, v42, s[48:49]                  // 0000000064C4: D100002E 00C25528
	v_cmp_u_f32_e64 s[48:49], v221, v221                       // 0000000064CC: D0480030 0003BBDD
	v_add3_u32 v40, v221, v43, 1                               // 0000000064D4: D1FF0028 020657DD
	v_cndmask_b32_e64 v47, v40, v42, s[48:49]                  // 0000000064DC: D100002F 00C25528
	v_perm_b32 v206, v47, v46, s52                             // 0000000064E4: D1ED00CE 00D25D2F
	v_cmp_u_f32_e64 s[48:49], v222, v222                       // 0000000064EC: D0480030 0003BDDE
	v_add3_u32 v40, v222, v43, 1                               // 0000000064F4: D1FF0028 020657DE
	v_cndmask_b32_e64 v46, v40, v42, s[48:49]                  // 0000000064FC: D100002E 00C25528
	v_cmp_u_f32_e64 s[48:49], v223, v223                       // 000000006504: D0480030 0003BFDF
	v_add3_u32 v40, v223, v43, 1                               // 00000000650C: D1FF0028 020657DF
	v_cndmask_b32_e64 v47, v40, v42, s[48:49]                  // 000000006514: D100002F 00C25528
	v_perm_b32 v207, v47, v46, s52                             // 00000000651C: D1ED00CF 00D25D2F
	ds_write_b64 v3, v[192:193] offset:26880                   // 000000006524: D89A6900 0000C003
	ds_write_b64 v3, v[194:195] offset:35584                   // 00000000652C: D89A8B00 0000C203
	ds_write_b64 v3, v[196:197] offset:29056                   // 000000006534: D89A7180 0000C403
	ds_write_b64 v3, v[198:199] offset:37760                   // 00000000653C: D89A9380 0000C603
	ds_write_b64 v3, v[200:201] offset:31232                   // 000000006544: D89A7A00 0000C803
	ds_write_b64 v3, v[202:203] offset:39936                   // 00000000654C: D89A9C00 0000CA03
	ds_write_b64 v3, v[204:205] offset:33408                   // 000000006554: D89A8280 0000CC03
	ds_write_b64 v3, v[206:207] offset:42112                   // 00000000655C: D89AA480 0000CE03
	s_waitcnt lgkmcnt(0)                                       // 000000006564: BF8CC07F
	s_barrier                                                  // 000000006568: BF8A0000
	ds_read_b32 v64, v4 offset:26880                           // 00000000656C: D86C6900 40000004
	ds_read_b32 v65, v4 offset:31232                           // 000000006574: D86C7A00 41000004
	ds_read_b32 v66, v4 offset:26912                           // 00000000657C: D86C6920 42000004
	ds_read_b32 v67, v4 offset:31264                           // 000000006584: D86C7A20 43000004
	ds_read_b32 v68, v4 offset:26944                           // 00000000658C: D86C6940 44000004
	ds_read_b32 v69, v4 offset:31296                           // 000000006594: D86C7A40 45000004
	ds_read_b32 v70, v4 offset:26976                           // 00000000659C: D86C6960 46000004
	ds_read_b32 v71, v4 offset:31328                           // 0000000065A4: D86C7A60 47000004
	ds_read_b32 v72, v4 offset:35584                           // 0000000065AC: D86C8B00 48000004
	ds_read_b32 v73, v4 offset:39936                           // 0000000065B4: D86C9C00 49000004
	ds_read_b32 v74, v4 offset:35616                           // 0000000065BC: D86C8B20 4A000004
	ds_read_b32 v75, v4 offset:39968                           // 0000000065C4: D86C9C20 4B000004
	ds_read_b32 v76, v4 offset:35648                           // 0000000065CC: D86C8B40 4C000004
	ds_read_b32 v77, v4 offset:40000                           // 0000000065D4: D86C9C40 4D000004
	ds_read_b32 v78, v4 offset:35680                           // 0000000065DC: D86C8B60 4E000004
	ds_read_b32 v79, v4 offset:40032                           // 0000000065E4: D86C9C60 4F000004
	s_waitcnt lgkmcnt(0)                                       // 0000000065EC: BF8CC07F
	s_mov_b64 exec, s[20:21]                                   // 0000000065F0: BEFE0114
	global_atomic_pk_add_bf16 v80, v64, s[8:9]                 // 0000000065F4: DD488000 00084050
	s_mov_b64 exec, s[36:37]                                   // 0000000065FC: BEFE0124
	s_mov_b64 exec, s[20:21]                                   // 000000006600: BEFE0114
	global_atomic_pk_add_bf16 v80, v65, s[8:9] offset:256      // 000000006604: DD488100 00084150
	s_mov_b64 exec, s[36:37]                                   // 00000000660C: BEFE0124
	s_mov_b64 exec, s[22:23]                                   // 000000006610: BEFE0116
	global_atomic_pk_add_bf16 v82, v66, s[8:9]                 // 000000006614: DD488000 00084252
	s_mov_b64 exec, s[36:37]                                   // 00000000661C: BEFE0124
	s_mov_b64 exec, s[22:23]                                   // 000000006620: BEFE0116
	global_atomic_pk_add_bf16 v82, v67, s[8:9] offset:256      // 000000006624: DD488100 00084352
	s_mov_b64 exec, s[36:37]                                   // 00000000662C: BEFE0124
	s_mov_b64 exec, s[24:25]                                   // 000000006630: BEFE0118
	global_atomic_pk_add_bf16 v84, v68, s[8:9]                 // 000000006634: DD488000 00084454
	s_mov_b64 exec, s[36:37]                                   // 00000000663C: BEFE0124
	s_mov_b64 exec, s[24:25]                                   // 000000006640: BEFE0118
	global_atomic_pk_add_bf16 v84, v69, s[8:9] offset:256      // 000000006644: DD488100 00084554
	s_mov_b64 exec, s[36:37]                                   // 00000000664C: BEFE0124
	s_mov_b64 exec, s[26:27]                                   // 000000006650: BEFE011A
	global_atomic_pk_add_bf16 v86, v70, s[8:9]                 // 000000006654: DD488000 00084656
	s_mov_b64 exec, s[36:37]                                   // 00000000665C: BEFE0124
	s_mov_b64 exec, s[26:27]                                   // 000000006660: BEFE011A
	global_atomic_pk_add_bf16 v86, v71, s[8:9] offset:256      // 000000006664: DD488100 00084756
	s_mov_b64 exec, s[36:37]                                   // 00000000666C: BEFE0124
	s_mov_b64 exec, s[28:29]                                   // 000000006670: BEFE011C
	global_atomic_pk_add_bf16 v88, v72, s[8:9]                 // 000000006674: DD488000 00084858
	s_mov_b64 exec, s[36:37]                                   // 00000000667C: BEFE0124
	s_mov_b64 exec, s[28:29]                                   // 000000006680: BEFE011C
	global_atomic_pk_add_bf16 v88, v73, s[8:9] offset:256      // 000000006684: DD488100 00084958
	s_mov_b64 exec, s[36:37]                                   // 00000000668C: BEFE0124
	s_mov_b64 exec, s[30:31]                                   // 000000006690: BEFE011E
	global_atomic_pk_add_bf16 v90, v74, s[8:9]                 // 000000006694: DD488000 00084A5A
	s_mov_b64 exec, s[36:37]                                   // 00000000669C: BEFE0124
	s_mov_b64 exec, s[30:31]                                   // 0000000066A0: BEFE011E
	global_atomic_pk_add_bf16 v90, v75, s[8:9] offset:256      // 0000000066A4: DD488100 00084B5A
	s_mov_b64 exec, s[36:37]                                   // 0000000066AC: BEFE0124
	s_mov_b64 exec, s[32:33]                                   // 0000000066B0: BEFE0120
	global_atomic_pk_add_bf16 v92, v76, s[8:9]                 // 0000000066B4: DD488000 00084C5C
	s_mov_b64 exec, s[36:37]                                   // 0000000066BC: BEFE0124
	s_mov_b64 exec, s[32:33]                                   // 0000000066C0: BEFE0120
	global_atomic_pk_add_bf16 v92, v77, s[8:9] offset:256      // 0000000066C4: DD488100 00084D5C
	s_mov_b64 exec, s[36:37]                                   // 0000000066CC: BEFE0124
	s_mov_b64 exec, s[34:35]                                   // 0000000066D0: BEFE0122
	global_atomic_pk_add_bf16 v94, v78, s[8:9]                 // 0000000066D4: DD488000 00084E5E
	s_mov_b64 exec, s[36:37]                                   // 0000000066DC: BEFE0124
	s_mov_b64 exec, s[34:35]                                   // 0000000066E0: BEFE0122
	global_atomic_pk_add_bf16 v94, v79, s[8:9] offset:256      // 0000000066E4: DD488100 00084F5E
	s_mov_b64 exec, s[36:37]                                   // 0000000066EC: BEFE0124
	s_add_u32 s8, s59, s8                                      // 0000000066F0: 8008083B
	s_addc_u32 s9, 0, s9                                       // 0000000066F4: 82090980
	s_addk_i32 s80, 0x100                                      // 0000000066F8: B7500100
	s_cmp_lt_i32 s80, s81                                      // 0000000066FC: BF045150
	s_cbranch_scc0 label_0E42                                  // 000000006700: BF840001
	s_branch label_08E3                                        // 000000006704: BF82FAA1

0000000000006708 <label_0E42>:
	s_nop 0                                                    // 000000006708: BF800000
	s_nop 0                                                    // 00000000670C: BF800000
	s_branch label_1A47                                        // 000000006710: BF820C02

0000000000006714 <label_0E45>:
	s_waitcnt vmcnt(8) lgkmcnt(0)                              // 000000006714: BF8C0078
	s_barrier                                                  // 000000006718: BF8A0000
	v_mfma_i32_16x16x32_i8 v[128:131], a[0:1], v[160:161], v[128:131]// 00000000671C: D3D70080 0E034100
	buffer_load_dwordx4 a[64:67], v32, s[92:95], 0 offen       // 000000006724: E05C1000 80974020
	v_mfma_i32_16x16x32_i8 v[128:131], a[2:3], v[162:163], v[128:131]// 00000000672C: D3D70080 0E034502
	v_mfma_i32_16x16x32_i8 v[128:131], a[4:5], v[164:165], v[128:131]// 000000006734: D3D70080 0E034904
	buffer_load_dword v24, s[20:23], 0 offen lds               // 00000000673C: E0511000 80050018
	s_add_u32 m0, 0x100, s51                                   // 000000006744: 807C33FF 00000100
	v_mfma_i32_16x16x32_i8 v[128:131], a[6:7], v[166:167], v[128:131]// 00000000674C: D3D70080 0E034D06
	v_mfma_i32_16x16x32_i8 v[128:131], a[8:9], v[168:169], v[128:131]// 000000006754: D3D70080 0E035108
	buffer_load_dwordx4 a[68:71], v32, s[92:95], 0 offen offset:1024// 00000000675C: E05C1400 80974420
	v_mfma_i32_16x16x32_i8 v[128:131], a[10:11], v[170:171], v[128:131]// 000000006764: D3D70080 0E03550A
	v_mfma_i32_16x16x32_i8 v[128:131], a[12:13], v[172:173], v[128:131]// 00000000676C: D3D70080 0E03590C
	buffer_load_dword v25, s[20:23], 0 offen lds               // 000000006774: E0511000 80050019
	s_add_u32 m0, 0x200, s51                                   // 00000000677C: 807C33FF 00000200
	v_mfma_i32_16x16x32_i8 v[128:131], a[14:15], v[174:175], v[128:131]// 000000006784: D3D70080 0E035D0E
	v_mfma_i32_16x16x32_i8 v[132:135], a[0:1], v[176:177], v[132:135]// 00000000678C: D3D70084 0E136100
	buffer_load_dwordx4 a[72:75], v32, s[92:95], 0 offen offset:2048// 000000006794: E05C1800 80974820
	v_mfma_i32_16x16x32_i8 v[132:135], a[2:3], v[178:179], v[132:135]// 00000000679C: D3D70084 0E136502
	v_mfma_i32_16x16x32_i8 v[132:135], a[4:5], v[180:181], v[132:135]// 0000000067A4: D3D70084 0E136904
	buffer_load_dword v26, s[20:23], 0 offen lds               // 0000000067AC: E0511000 8005001A
	s_add_u32 m0, 0x300, s51                                   // 0000000067B4: 807C33FF 00000300
	v_mfma_i32_16x16x32_i8 v[132:135], a[6:7], v[182:183], v[132:135]// 0000000067BC: D3D70084 0E136D06
	v_mfma_i32_16x16x32_i8 v[132:135], a[8:9], v[184:185], v[132:135]// 0000000067C4: D3D70084 0E137108
	buffer_load_dwordx4 a[76:79], v32, s[92:95], 0 offen offset:3072// 0000000067CC: E05C1C00 80974C20
	v_mfma_i32_16x16x32_i8 v[132:135], a[10:11], v[186:187], v[132:135]// 0000000067D4: D3D70084 0E13750A
	v_mfma_i32_16x16x32_i8 v[132:135], a[12:13], v[188:189], v[132:135]// 0000000067DC: D3D70084 0E13790C
	buffer_load_dword v27, s[20:23], 0 offen lds               // 0000000067E4: E0511000 8005001B
	s_add_u32 m0, 0x400, s51                                   // 0000000067EC: 807C33FF 00000400
	v_mfma_i32_16x16x32_i8 v[132:135], a[14:15], v[190:191], v[132:135]// 0000000067F4: D3D70084 0E137D0E
	v_mfma_i32_16x16x32_i8 v[136:139], a[16:17], v[160:161], v[136:139]// 0000000067FC: D3D70088 0E234110
	buffer_load_dwordx4 a[80:83], v33, s[92:95], 0 offen       // 000000006804: E05C1000 80975021
	v_mfma_i32_16x16x32_i8 v[136:139], a[18:19], v[162:163], v[136:139]// 00000000680C: D3D70088 0E234512
	v_mfma_i32_16x16x32_i8 v[136:139], a[20:21], v[164:165], v[136:139]// 000000006814: D3D70088 0E234914
	buffer_load_dword v28, s[20:23], 0 offen lds               // 00000000681C: E0511000 8005001C
	s_add_u32 m0, 0x500, s51                                   // 000000006824: 807C33FF 00000500
	v_mfma_i32_16x16x32_i8 v[136:139], a[22:23], v[166:167], v[136:139]// 00000000682C: D3D70088 0E234D16
	v_mfma_i32_16x16x32_i8 v[136:139], a[24:25], v[168:169], v[136:139]// 000000006834: D3D70088 0E235118
	buffer_load_dwordx4 a[84:87], v33, s[92:95], 0 offen offset:1024// 00000000683C: E05C1400 80975421
	v_mfma_i32_16x16x32_i8 v[136:139], a[26:27], v[170:171], v[136:139]// 000000006844: D3D70088 0E23551A
	v_mfma_i32_16x16x32_i8 v[136:139], a[28:29], v[172:173], v[136:139]// 00000000684C: D3D70088 0E23591C
	buffer_load_dword v29, s[20:23], 0 offen lds               // 000000006854: E0511000 8005001D
	s_add_u32 m0, 0x600, s51                                   // 00000000685C: 807C33FF 00000600
	v_mfma_i32_16x16x32_i8 v[136:139], a[30:31], v[174:175], v[136:139]// 000000006864: D3D70088 0E235D1E
	v_mfma_i32_16x16x32_i8 v[140:143], a[16:17], v[176:177], v[140:143]// 00000000686C: D3D7008C 0E336110
	buffer_load_dwordx4 a[88:91], v33, s[92:95], 0 offen offset:2048// 000000006874: E05C1800 80975821
	v_mfma_i32_16x16x32_i8 v[140:143], a[18:19], v[178:179], v[140:143]// 00000000687C: D3D7008C 0E336512
	v_mfma_i32_16x16x32_i8 v[140:143], a[20:21], v[180:181], v[140:143]// 000000006884: D3D7008C 0E336914
	buffer_load_dword v30, s[20:23], 0 offen lds               // 00000000688C: E0511000 8005001E
	s_add_u32 m0, 0x700, s51                                   // 000000006894: 807C33FF 00000700
	v_mfma_i32_16x16x32_i8 v[140:143], a[22:23], v[182:183], v[140:143]// 00000000689C: D3D7008C 0E336D16
	v_mfma_i32_16x16x32_i8 v[140:143], a[24:25], v[184:185], v[140:143]// 0000000068A4: D3D7008C 0E337118
	buffer_load_dwordx4 a[92:95], v33, s[92:95], 0 offen offset:3072// 0000000068AC: E05C1C00 80975C21
	v_mfma_i32_16x16x32_i8 v[140:143], a[26:27], v[186:187], v[140:143]// 0000000068B4: D3D7008C 0E33751A
	v_mfma_i32_16x16x32_i8 v[140:143], a[28:29], v[188:189], v[140:143]// 0000000068BC: D3D7008C 0E33791C
	buffer_load_dword v31, s[20:23], 0 offen lds               // 0000000068C4: E0511000 8005001F
	s_add_u32 m0, 0, s50                                       // 0000000068CC: 807C3280
	v_mfma_i32_16x16x32_i8 v[140:143], a[30:31], v[190:191], v[140:143]// 0000000068D0: D3D7008C 0E337D1E
	s_waitcnt vmcnt(20)                                        // 0000000068D8: BF8C4F74
	v_mfma_i32_16x16x32_i8 v[144:147], a[32:33], v[160:161], v[144:147]// 0000000068DC: D3D70090 0E434120
	buffer_load_dwordx4 a[96:99], v34, s[92:95], 0 offen       // 0000000068E4: E05C1000 80976022
	v_mfma_i32_16x16x32_i8 v[144:147], a[34:35], v[162:163], v[144:147]// 0000000068EC: D3D70090 0E434522
	v_mfma_i32_16x16x32_i8 v[144:147], a[36:37], v[164:165], v[144:147]// 0000000068F4: D3D70090 0E434924
	v_mfma_i32_16x16x32_i8 v[144:147], a[38:39], v[166:167], v[144:147]// 0000000068FC: D3D70090 0E434D26
	v_mfma_i32_16x16x32_i8 v[144:147], a[40:41], v[168:169], v[144:147]// 000000006904: D3D70090 0E435128
	buffer_load_dwordx4 a[100:103], v34, s[92:95], 0 offen offset:1024// 00000000690C: E05C1400 80976422
	v_mfma_i32_16x16x32_i8 v[144:147], a[42:43], v[170:171], v[144:147]// 000000006914: D3D70090 0E43552A
	v_mfma_i32_16x16x32_i8 v[144:147], a[44:45], v[172:173], v[144:147]// 00000000691C: D3D70090 0E43592C
	v_mfma_i32_16x16x32_i8 v[144:147], a[46:47], v[174:175], v[144:147]// 000000006924: D3D70090 0E435D2E
	v_mfma_i32_16x16x32_i8 v[148:151], a[32:33], v[176:177], v[148:151]// 00000000692C: D3D70094 0E536120
	buffer_load_dwordx4 a[104:107], v34, s[92:95], 0 offen offset:2048// 000000006934: E05C1800 80976822
	v_mfma_i32_16x16x32_i8 v[148:151], a[34:35], v[178:179], v[148:151]// 00000000693C: D3D70094 0E536522
	v_mfma_i32_16x16x32_i8 v[148:151], a[36:37], v[180:181], v[148:151]// 000000006944: D3D70094 0E536924
	v_mfma_i32_16x16x32_i8 v[148:151], a[38:39], v[182:183], v[148:151]// 00000000694C: D3D70094 0E536D26
	v_mfma_i32_16x16x32_i8 v[148:151], a[40:41], v[184:185], v[148:151]// 000000006954: D3D70094 0E537128
	buffer_load_dwordx4 a[108:111], v34, s[92:95], 0 offen offset:3072// 00000000695C: E05C1C00 80976C22
	v_mfma_i32_16x16x32_i8 v[148:151], a[42:43], v[186:187], v[148:151]// 000000006964: D3D70094 0E53752A
	v_mfma_i32_16x16x32_i8 v[148:151], a[44:45], v[188:189], v[148:151]// 00000000696C: D3D70094 0E53792C
	v_mfma_i32_16x16x32_i8 v[148:151], a[46:47], v[190:191], v[148:151]// 000000006974: D3D70094 0E537D2E
	s_waitcnt vmcnt(20)                                        // 00000000697C: BF8C4F74
	v_mfma_i32_16x16x32_i8 v[152:155], a[48:49], v[160:161], v[152:155]// 000000006980: D3D70098 0E634130
	buffer_load_dwordx4 a[112:115], v35, s[92:95], 0 offen     // 000000006988: E05C1000 80977023
	v_mfma_i32_16x16x32_i8 v[152:155], a[50:51], v[162:163], v[152:155]// 000000006990: D3D70098 0E634532
	v_mfma_i32_16x16x32_i8 v[152:155], a[52:53], v[164:165], v[152:155]// 000000006998: D3D70098 0E634934
	v_mfma_i32_16x16x32_i8 v[152:155], a[54:55], v[166:167], v[152:155]// 0000000069A0: D3D70098 0E634D36
	v_mfma_i32_16x16x32_i8 v[152:155], a[56:57], v[168:169], v[152:155]// 0000000069A8: D3D70098 0E635138
	buffer_load_dwordx4 a[116:119], v35, s[92:95], 0 offen offset:1024// 0000000069B0: E05C1400 80977423
	v_mfma_i32_16x16x32_i8 v[152:155], a[58:59], v[170:171], v[152:155]// 0000000069B8: D3D70098 0E63553A
	v_mfma_i32_16x16x32_i8 v[152:155], a[60:61], v[172:173], v[152:155]// 0000000069C0: D3D70098 0E63593C
	v_mfma_i32_16x16x32_i8 v[152:155], a[62:63], v[174:175], v[152:155]// 0000000069C8: D3D70098 0E635D3E
	v_mfma_i32_16x16x32_i8 v[156:159], a[48:49], v[176:177], v[156:159]// 0000000069D0: D3D7009C 0E736130
	buffer_load_dwordx4 a[120:123], v35, s[92:95], 0 offen offset:2048// 0000000069D8: E05C1800 80977823
	v_mfma_i32_16x16x32_i8 v[156:159], a[50:51], v[178:179], v[156:159]// 0000000069E0: D3D7009C 0E736532
	v_mfma_i32_16x16x32_i8 v[156:159], a[52:53], v[180:181], v[156:159]// 0000000069E8: D3D7009C 0E736934
	v_mfma_i32_16x16x32_i8 v[156:159], a[54:55], v[182:183], v[156:159]// 0000000069F0: D3D7009C 0E736D36
	v_mfma_i32_16x16x32_i8 v[156:159], a[56:57], v[184:185], v[156:159]// 0000000069F8: D3D7009C 0E737138
	buffer_load_dwordx4 a[124:127], v35, s[92:95], 0 offen offset:3072// 000000006A00: E05C1C00 80977C23
	v_mfma_i32_16x16x32_i8 v[156:159], a[58:59], v[186:187], v[156:159]// 000000006A08: D3D7009C 0E73753A
	v_mfma_i32_16x16x32_i8 v[156:159], a[60:61], v[188:189], v[156:159]// 000000006A10: D3D7009C 0E73793C
	v_mfma_i32_16x16x32_i8 v[156:159], a[62:63], v[190:191], v[156:159]// 000000006A18: D3D7009C 0E737D3E
	s_waitcnt vmcnt(8)                                         // 000000006A20: BF8C0F78
	s_barrier                                                  // 000000006A24: BF8A0000
	v_mfma_i32_16x16x32_i8 v[64:67], a[64:65], v[160:161], v[64:67]// 000000006A28: D3D70040 0D034140
	buffer_load_dwordx4 a[0:3], v32, s[24:27], 0 offen         // 000000006A30: E05C1000 80860020
	v_mfma_i32_16x16x32_i8 v[64:67], a[66:67], v[162:163], v[64:67]// 000000006A38: D3D70040 0D034542
	v_mfma_i32_16x16x32_i8 v[64:67], a[68:69], v[164:165], v[64:67]// 000000006A40: D3D70040 0D034944
	v_mfma_i32_16x16x32_i8 v[64:67], a[70:71], v[166:167], v[64:67]// 000000006A48: D3D70040 0D034D46
	v_mfma_i32_16x16x32_i8 v[64:67], a[72:73], v[168:169], v[64:67]// 000000006A50: D3D70040 0D035148
	buffer_load_dwordx4 a[4:7], v32, s[24:27], 0 offen offset:1024// 000000006A58: E05C1400 80860420
	v_mfma_i32_16x16x32_i8 v[64:67], a[74:75], v[170:171], v[64:67]// 000000006A60: D3D70040 0D03554A
	v_mfma_i32_16x16x32_i8 v[64:67], a[76:77], v[172:173], v[64:67]// 000000006A68: D3D70040 0D03594C
	v_mfma_i32_16x16x32_i8 v[64:67], a[78:79], v[174:175], v[64:67]// 000000006A70: D3D70040 0D035D4E
	v_mfma_i32_16x16x32_i8 v[68:71], a[64:65], v[176:177], v[68:71]// 000000006A78: D3D70044 0D136140
	buffer_load_dwordx4 a[8:11], v32, s[24:27], 0 offen offset:2048// 000000006A80: E05C1800 80860820
	v_mfma_i32_16x16x32_i8 v[68:71], a[66:67], v[178:179], v[68:71]// 000000006A88: D3D70044 0D136542
	v_mfma_i32_16x16x32_i8 v[68:71], a[68:69], v[180:181], v[68:71]// 000000006A90: D3D70044 0D136944
	v_mfma_i32_16x16x32_i8 v[68:71], a[70:71], v[182:183], v[68:71]// 000000006A98: D3D70044 0D136D46
	v_mfma_i32_16x16x32_i8 v[68:71], a[72:73], v[184:185], v[68:71]// 000000006AA0: D3D70044 0D137148
	buffer_load_dwordx4 a[12:15], v32, s[24:27], 0 offen offset:3072// 000000006AA8: E05C1C00 80860C20
	v_mfma_i32_16x16x32_i8 v[68:71], a[74:75], v[186:187], v[68:71]// 000000006AB0: D3D70044 0D13754A
	v_mfma_i32_16x16x32_i8 v[68:71], a[76:77], v[188:189], v[68:71]// 000000006AB8: D3D70044 0D13794C
	v_mfma_i32_16x16x32_i8 v[68:71], a[78:79], v[190:191], v[68:71]// 000000006AC0: D3D70044 0D137D4E
	v_mfma_i32_16x16x32_i8 v[72:75], a[80:81], v[160:161], v[72:75]// 000000006AC8: D3D70048 0D234150
	buffer_load_dwordx4 a[16:19], v33, s[24:27], 0 offen       // 000000006AD0: E05C1000 80861021
	v_mfma_i32_16x16x32_i8 v[72:75], a[82:83], v[162:163], v[72:75]// 000000006AD8: D3D70048 0D234552
	v_mfma_i32_16x16x32_i8 v[72:75], a[84:85], v[164:165], v[72:75]// 000000006AE0: D3D70048 0D234954
	v_mfma_i32_16x16x32_i8 v[72:75], a[86:87], v[166:167], v[72:75]// 000000006AE8: D3D70048 0D234D56
	v_mfma_i32_16x16x32_i8 v[72:75], a[88:89], v[168:169], v[72:75]// 000000006AF0: D3D70048 0D235158
	buffer_load_dwordx4 a[20:23], v33, s[24:27], 0 offen offset:1024// 000000006AF8: E05C1400 80861421
	v_mfma_i32_16x16x32_i8 v[72:75], a[90:91], v[170:171], v[72:75]// 000000006B00: D3D70048 0D23555A
	v_mfma_i32_16x16x32_i8 v[72:75], a[92:93], v[172:173], v[72:75]// 000000006B08: D3D70048 0D23595C
	v_mfma_i32_16x16x32_i8 v[72:75], a[94:95], v[174:175], v[72:75]// 000000006B10: D3D70048 0D235D5E
	v_mfma_i32_16x16x32_i8 v[76:79], a[80:81], v[176:177], v[76:79]// 000000006B18: D3D7004C 0D336150
	buffer_load_dwordx4 a[24:27], v33, s[24:27], 0 offen offset:2048// 000000006B20: E05C1800 80861821
	v_mfma_i32_16x16x32_i8 v[76:79], a[82:83], v[178:179], v[76:79]// 000000006B28: D3D7004C 0D336552
	v_mfma_i32_16x16x32_i8 v[76:79], a[84:85], v[180:181], v[76:79]// 000000006B30: D3D7004C 0D336954
	v_mfma_i32_16x16x32_i8 v[76:79], a[86:87], v[182:183], v[76:79]// 000000006B38: D3D7004C 0D336D56
	v_mfma_i32_16x16x32_i8 v[76:79], a[88:89], v[184:185], v[76:79]// 000000006B40: D3D7004C 0D337158
	buffer_load_dwordx4 a[28:31], v33, s[24:27], 0 offen offset:3072// 000000006B48: E05C1C00 80861C21
	v_mfma_i32_16x16x32_i8 v[76:79], a[90:91], v[186:187], v[76:79]// 000000006B50: D3D7004C 0D33755A
	v_mfma_i32_16x16x32_i8 v[76:79], a[92:93], v[188:189], v[76:79]// 000000006B58: D3D7004C 0D33795C
	v_mfma_i32_16x16x32_i8 v[76:79], a[94:95], v[190:191], v[76:79]// 000000006B60: D3D7004C 0D337D5E
	s_waitcnt vmcnt(12)                                        // 000000006B68: BF8C0F7C
	v_mfma_i32_16x16x32_i8 v[80:83], a[96:97], v[160:161], v[80:83]// 000000006B6C: D3D70050 0D434160
	buffer_load_dwordx4 a[32:35], v34, s[24:27], 0 offen       // 000000006B74: E05C1000 80862022
	v_mfma_i32_16x16x32_i8 v[80:83], a[98:99], v[162:163], v[80:83]// 000000006B7C: D3D70050 0D434562
	v_mfma_i32_16x16x32_i8 v[80:83], a[100:101], v[164:165], v[80:83]// 000000006B84: D3D70050 0D434964
	ds_read_b128 v[192:195], v2 offset:8320                    // 000000006B8C: D9FE2080 C0000002
	v_mfma_i32_16x16x32_i8 v[80:83], a[102:103], v[166:167], v[80:83]// 000000006B94: D3D70050 0D434D66
	v_mfma_i32_16x16x32_i8 v[80:83], a[104:105], v[168:169], v[80:83]// 000000006B9C: D3D70050 0D435168
	buffer_load_dwordx4 a[36:39], v34, s[24:27], 0 offen offset:1024// 000000006BA4: E05C1400 80862422
	v_mfma_i32_16x16x32_i8 v[80:83], a[106:107], v[170:171], v[80:83]// 000000006BAC: D3D70050 0D43556A
	v_mfma_i32_16x16x32_i8 v[80:83], a[108:109], v[172:173], v[80:83]// 000000006BB4: D3D70050 0D43596C
	ds_read_b128 v[196:199], v2 offset:8384                    // 000000006BBC: D9FE20C0 C4000002
	v_mfma_i32_16x16x32_i8 v[80:83], a[110:111], v[174:175], v[80:83]// 000000006BC4: D3D70050 0D435D6E
	v_mfma_i32_16x16x32_i8 v[84:87], a[96:97], v[176:177], v[84:87]// 000000006BCC: D3D70054 0D536160
	buffer_load_dwordx4 a[40:43], v34, s[24:27], 0 offen offset:2048// 000000006BD4: E05C1800 80862822
	v_mfma_i32_16x16x32_i8 v[84:87], a[98:99], v[178:179], v[84:87]// 000000006BDC: D3D70054 0D536562
	v_mfma_i32_16x16x32_i8 v[84:87], a[100:101], v[180:181], v[84:87]// 000000006BE4: D3D70054 0D536964
	ds_read_b128 v[200:203], v2 offset:8448                    // 000000006BEC: D9FE2100 C8000002
	v_mfma_i32_16x16x32_i8 v[84:87], a[102:103], v[182:183], v[84:87]// 000000006BF4: D3D70054 0D536D66
	v_mfma_i32_16x16x32_i8 v[84:87], a[104:105], v[184:185], v[84:87]// 000000006BFC: D3D70054 0D537168
	buffer_load_dwordx4 a[44:47], v34, s[24:27], 0 offen offset:3072// 000000006C04: E05C1C00 80862C22
	v_mfma_i32_16x16x32_i8 v[84:87], a[106:107], v[186:187], v[84:87]// 000000006C0C: D3D70054 0D53756A
	v_mfma_i32_16x16x32_i8 v[84:87], a[108:109], v[188:189], v[84:87]// 000000006C14: D3D70054 0D53796C
	ds_read_b128 v[204:207], v2 offset:8512                    // 000000006C1C: D9FE2140 CC000002
	v_mfma_i32_16x16x32_i8 v[84:87], a[110:111], v[190:191], v[84:87]// 000000006C24: D3D70054 0D537D6E
	s_waitcnt vmcnt(12)                                        // 000000006C2C: BF8C0F7C
	v_mfma_i32_16x16x32_i8 v[88:91], a[112:113], v[160:161], v[88:91]// 000000006C30: D3D70058 0D634170
	buffer_load_dwordx4 a[48:51], v35, s[24:27], 0 offen       // 000000006C38: E05C1000 80863023
	v_mfma_i32_16x16x32_i8 v[88:91], a[114:115], v[162:163], v[88:91]// 000000006C40: D3D70058 0D634572
	v_mfma_i32_16x16x32_i8 v[88:91], a[116:117], v[164:165], v[88:91]// 000000006C48: D3D70058 0D634974
	ds_read_b128 v[208:211], v2 offset:9344                    // 000000006C50: D9FE2480 D0000002
	v_mfma_i32_16x16x32_i8 v[88:91], a[118:119], v[166:167], v[88:91]// 000000006C58: D3D70058 0D634D76
	v_mfma_i32_16x16x32_i8 v[88:91], a[120:121], v[168:169], v[88:91]// 000000006C60: D3D70058 0D635178
	buffer_load_dwordx4 a[52:55], v35, s[24:27], 0 offen offset:1024// 000000006C68: E05C1400 80863423
	v_mfma_i32_16x16x32_i8 v[88:91], a[122:123], v[170:171], v[88:91]// 000000006C70: D3D70058 0D63557A
	v_mfma_i32_16x16x32_i8 v[88:91], a[124:125], v[172:173], v[88:91]// 000000006C78: D3D70058 0D63597C
	ds_read_b128 v[212:215], v2 offset:9408                    // 000000006C80: D9FE24C0 D4000002
	v_mfma_i32_16x16x32_i8 v[88:91], a[126:127], v[174:175], v[88:91]// 000000006C88: D3D70058 0D635D7E
	v_mfma_i32_16x16x32_i8 v[92:95], a[112:113], v[176:177], v[92:95]// 000000006C90: D3D7005C 0D736170
	buffer_load_dwordx4 a[56:59], v35, s[24:27], 0 offen offset:2048// 000000006C98: E05C1800 80863823
	v_mfma_i32_16x16x32_i8 v[92:95], a[114:115], v[178:179], v[92:95]// 000000006CA0: D3D7005C 0D736572
	v_mfma_i32_16x16x32_i8 v[92:95], a[116:117], v[180:181], v[92:95]// 000000006CA8: D3D7005C 0D736974
	ds_read_b128 v[216:219], v2 offset:9472                    // 000000006CB0: D9FE2500 D8000002
	v_mfma_i32_16x16x32_i8 v[92:95], a[118:119], v[182:183], v[92:95]// 000000006CB8: D3D7005C 0D736D76
	v_mfma_i32_16x16x32_i8 v[92:95], a[120:121], v[184:185], v[92:95]// 000000006CC0: D3D7005C 0D737178
	buffer_load_dwordx4 a[60:63], v35, s[24:27], 0 offen offset:3072// 000000006CC8: E05C1C00 80863C23
	v_mfma_i32_16x16x32_i8 v[92:95], a[122:123], v[186:187], v[92:95]// 000000006CD0: D3D7005C 0D73757A
	v_mfma_i32_16x16x32_i8 v[92:95], a[124:125], v[188:189], v[92:95]// 000000006CD8: D3D7005C 0D73797C
	ds_read_b128 v[220:223], v2 offset:9536                    // 000000006CE0: D9FE2540 DC000002
	v_mfma_i32_16x16x32_i8 v[92:95], a[126:127], v[190:191], v[92:95]// 000000006CE8: D3D7005C 0D737D7E
	s_add_u32 s60, 0x200, s80                                  // 000000006CF0: 803C50FF 00000200
	s_cmp_lt_u32 s60, s81                                      // 000000006CF8: BF0A513C
	s_cselect_b32 s57, s57, 0                                  // 000000006CFC: 85398039
	s_add_u32 s60, 0x200, s80                                  // 000000006D00: 803C50FF 00000200
	s_cmp_lt_u32 s60, s81                                      // 000000006D08: BF0A513C
	s_cselect_b32 s58, s58, 0                                  // 000000006D0C: 853A803A
	s_add_u32 s20, s57, s20                                    // 000000006D10: 80141439
	s_addc_u32 s21, 0, s21                                     // 000000006D14: 82151580
	s_add_u32 s24, s58, s24                                    // 000000006D18: 8018183A
	s_addc_u32 s25, 0, s25                                     // 000000006D1C: 82191980
	s_add_u32 s92, s90, s92                                    // 000000006D20: 805C5C5A
	s_addc_u32 s93, 0, s93                                     // 000000006D24: 825D5D80
	s_addk_i32 s80, 0x100                                      // 000000006D28: B7500100
	s_cmp_lt_i32 s80, s81                                      // 000000006D2C: BF045150
	s_cbranch_scc0 label_1156                                  // 000000006D30: BF840189
	s_waitcnt vmcnt(8) lgkmcnt(0)                              // 000000006D34: BF8C0078
	s_barrier                                                  // 000000006D38: BF8A0000
	v_mfma_i32_16x16x32_i8 v[128:131], a[0:1], v[192:193], v[128:131]// 000000006D3C: D3D70080 0E038100
	buffer_load_dwordx4 a[64:67], v32, s[92:95], 0 offen       // 000000006D44: E05C1000 80974020
	v_mfma_i32_16x16x32_i8 v[128:131], a[2:3], v[194:195], v[128:131]// 000000006D4C: D3D70080 0E038502
	v_mfma_i32_16x16x32_i8 v[128:131], a[4:5], v[196:197], v[128:131]// 000000006D54: D3D70080 0E038904
	buffer_load_dword v24, s[20:23], 0 offen lds               // 000000006D5C: E0511000 80050018
	s_add_u32 m0, 0x100, s50                                   // 000000006D64: 807C32FF 00000100
	v_mfma_i32_16x16x32_i8 v[128:131], a[6:7], v[198:199], v[128:131]// 000000006D6C: D3D70080 0E038D06
	v_mfma_i32_16x16x32_i8 v[128:131], a[8:9], v[200:201], v[128:131]// 000000006D74: D3D70080 0E039108
	buffer_load_dwordx4 a[68:71], v32, s[92:95], 0 offen offset:1024// 000000006D7C: E05C1400 80974420
	v_mfma_i32_16x16x32_i8 v[128:131], a[10:11], v[202:203], v[128:131]// 000000006D84: D3D70080 0E03950A
	v_mfma_i32_16x16x32_i8 v[128:131], a[12:13], v[204:205], v[128:131]// 000000006D8C: D3D70080 0E03990C
	buffer_load_dword v25, s[20:23], 0 offen lds               // 000000006D94: E0511000 80050019
	s_add_u32 m0, 0x200, s50                                   // 000000006D9C: 807C32FF 00000200
	v_mfma_i32_16x16x32_i8 v[128:131], a[14:15], v[206:207], v[128:131]// 000000006DA4: D3D70080 0E039D0E
	v_mfma_i32_16x16x32_i8 v[132:135], a[0:1], v[208:209], v[132:135]// 000000006DAC: D3D70084 0E13A100
	buffer_load_dwordx4 a[72:75], v32, s[92:95], 0 offen offset:2048// 000000006DB4: E05C1800 80974820
	v_mfma_i32_16x16x32_i8 v[132:135], a[2:3], v[210:211], v[132:135]// 000000006DBC: D3D70084 0E13A502
	v_mfma_i32_16x16x32_i8 v[132:135], a[4:5], v[212:213], v[132:135]// 000000006DC4: D3D70084 0E13A904
	buffer_load_dword v26, s[20:23], 0 offen lds               // 000000006DCC: E0511000 8005001A
	s_add_u32 m0, 0x300, s50                                   // 000000006DD4: 807C32FF 00000300
	v_mfma_i32_16x16x32_i8 v[132:135], a[6:7], v[214:215], v[132:135]// 000000006DDC: D3D70084 0E13AD06
	v_mfma_i32_16x16x32_i8 v[132:135], a[8:9], v[216:217], v[132:135]// 000000006DE4: D3D70084 0E13B108
	buffer_load_dwordx4 a[76:79], v32, s[92:95], 0 offen offset:3072// 000000006DEC: E05C1C00 80974C20
	v_mfma_i32_16x16x32_i8 v[132:135], a[10:11], v[218:219], v[132:135]// 000000006DF4: D3D70084 0E13B50A
	v_mfma_i32_16x16x32_i8 v[132:135], a[12:13], v[220:221], v[132:135]// 000000006DFC: D3D70084 0E13B90C
	buffer_load_dword v27, s[20:23], 0 offen lds               // 000000006E04: E0511000 8005001B
	s_add_u32 m0, 0x400, s50                                   // 000000006E0C: 807C32FF 00000400
	v_mfma_i32_16x16x32_i8 v[132:135], a[14:15], v[222:223], v[132:135]// 000000006E14: D3D70084 0E13BD0E
	v_mfma_i32_16x16x32_i8 v[136:139], a[16:17], v[192:193], v[136:139]// 000000006E1C: D3D70088 0E238110
	buffer_load_dwordx4 a[80:83], v33, s[92:95], 0 offen       // 000000006E24: E05C1000 80975021
	v_mfma_i32_16x16x32_i8 v[136:139], a[18:19], v[194:195], v[136:139]// 000000006E2C: D3D70088 0E238512
	v_mfma_i32_16x16x32_i8 v[136:139], a[20:21], v[196:197], v[136:139]// 000000006E34: D3D70088 0E238914
	buffer_load_dword v28, s[20:23], 0 offen lds               // 000000006E3C: E0511000 8005001C
	s_add_u32 m0, 0x500, s50                                   // 000000006E44: 807C32FF 00000500
	v_mfma_i32_16x16x32_i8 v[136:139], a[22:23], v[198:199], v[136:139]// 000000006E4C: D3D70088 0E238D16
	v_mfma_i32_16x16x32_i8 v[136:139], a[24:25], v[200:201], v[136:139]// 000000006E54: D3D70088 0E239118
	buffer_load_dwordx4 a[84:87], v33, s[92:95], 0 offen offset:1024// 000000006E5C: E05C1400 80975421
	v_mfma_i32_16x16x32_i8 v[136:139], a[26:27], v[202:203], v[136:139]// 000000006E64: D3D70088 0E23951A
	v_mfma_i32_16x16x32_i8 v[136:139], a[28:29], v[204:205], v[136:139]// 000000006E6C: D3D70088 0E23991C
	buffer_load_dword v29, s[20:23], 0 offen lds               // 000000006E74: E0511000 8005001D
	s_add_u32 m0, 0x600, s50                                   // 000000006E7C: 807C32FF 00000600
	v_mfma_i32_16x16x32_i8 v[136:139], a[30:31], v[206:207], v[136:139]// 000000006E84: D3D70088 0E239D1E
	v_mfma_i32_16x16x32_i8 v[140:143], a[16:17], v[208:209], v[140:143]// 000000006E8C: D3D7008C 0E33A110
	buffer_load_dwordx4 a[88:91], v33, s[92:95], 0 offen offset:2048// 000000006E94: E05C1800 80975821
	v_mfma_i32_16x16x32_i8 v[140:143], a[18:19], v[210:211], v[140:143]// 000000006E9C: D3D7008C 0E33A512
	v_mfma_i32_16x16x32_i8 v[140:143], a[20:21], v[212:213], v[140:143]// 000000006EA4: D3D7008C 0E33A914
	buffer_load_dword v30, s[20:23], 0 offen lds               // 000000006EAC: E0511000 8005001E
	s_add_u32 m0, 0x700, s50                                   // 000000006EB4: 807C32FF 00000700
	v_mfma_i32_16x16x32_i8 v[140:143], a[22:23], v[214:215], v[140:143]// 000000006EBC: D3D7008C 0E33AD16
	v_mfma_i32_16x16x32_i8 v[140:143], a[24:25], v[216:217], v[140:143]// 000000006EC4: D3D7008C 0E33B118
	buffer_load_dwordx4 a[92:95], v33, s[92:95], 0 offen offset:3072// 000000006ECC: E05C1C00 80975C21
	v_mfma_i32_16x16x32_i8 v[140:143], a[26:27], v[218:219], v[140:143]// 000000006ED4: D3D7008C 0E33B51A
	v_mfma_i32_16x16x32_i8 v[140:143], a[28:29], v[220:221], v[140:143]// 000000006EDC: D3D7008C 0E33B91C
	buffer_load_dword v31, s[20:23], 0 offen lds               // 000000006EE4: E0511000 8005001F
	s_add_u32 m0, 0, s51                                       // 000000006EEC: 807C3380
	v_mfma_i32_16x16x32_i8 v[140:143], a[30:31], v[222:223], v[140:143]// 000000006EF0: D3D7008C 0E33BD1E
	s_waitcnt vmcnt(20)                                        // 000000006EF8: BF8C4F74
	v_mfma_i32_16x16x32_i8 v[144:147], a[32:33], v[192:193], v[144:147]// 000000006EFC: D3D70090 0E438120
	buffer_load_dwordx4 a[96:99], v34, s[92:95], 0 offen       // 000000006F04: E05C1000 80976022
	v_mfma_i32_16x16x32_i8 v[144:147], a[34:35], v[194:195], v[144:147]// 000000006F0C: D3D70090 0E438522
	v_mfma_i32_16x16x32_i8 v[144:147], a[36:37], v[196:197], v[144:147]// 000000006F14: D3D70090 0E438924
	v_mfma_i32_16x16x32_i8 v[144:147], a[38:39], v[198:199], v[144:147]// 000000006F1C: D3D70090 0E438D26
	v_mfma_i32_16x16x32_i8 v[144:147], a[40:41], v[200:201], v[144:147]// 000000006F24: D3D70090 0E439128
	buffer_load_dwordx4 a[100:103], v34, s[92:95], 0 offen offset:1024// 000000006F2C: E05C1400 80976422
	v_mfma_i32_16x16x32_i8 v[144:147], a[42:43], v[202:203], v[144:147]// 000000006F34: D3D70090 0E43952A
	v_mfma_i32_16x16x32_i8 v[144:147], a[44:45], v[204:205], v[144:147]// 000000006F3C: D3D70090 0E43992C
	v_mfma_i32_16x16x32_i8 v[144:147], a[46:47], v[206:207], v[144:147]// 000000006F44: D3D70090 0E439D2E
	v_mfma_i32_16x16x32_i8 v[148:151], a[32:33], v[208:209], v[148:151]// 000000006F4C: D3D70094 0E53A120
	buffer_load_dwordx4 a[104:107], v34, s[92:95], 0 offen offset:2048// 000000006F54: E05C1800 80976822
	v_mfma_i32_16x16x32_i8 v[148:151], a[34:35], v[210:211], v[148:151]// 000000006F5C: D3D70094 0E53A522
	v_mfma_i32_16x16x32_i8 v[148:151], a[36:37], v[212:213], v[148:151]// 000000006F64: D3D70094 0E53A924
	v_mfma_i32_16x16x32_i8 v[148:151], a[38:39], v[214:215], v[148:151]// 000000006F6C: D3D70094 0E53AD26
	v_mfma_i32_16x16x32_i8 v[148:151], a[40:41], v[216:217], v[148:151]// 000000006F74: D3D70094 0E53B128
	buffer_load_dwordx4 a[108:111], v34, s[92:95], 0 offen offset:3072// 000000006F7C: E05C1C00 80976C22
	v_mfma_i32_16x16x32_i8 v[148:151], a[42:43], v[218:219], v[148:151]// 000000006F84: D3D70094 0E53B52A
	v_mfma_i32_16x16x32_i8 v[148:151], a[44:45], v[220:221], v[148:151]// 000000006F8C: D3D70094 0E53B92C
	v_mfma_i32_16x16x32_i8 v[148:151], a[46:47], v[222:223], v[148:151]// 000000006F94: D3D70094 0E53BD2E
	s_waitcnt vmcnt(20)                                        // 000000006F9C: BF8C4F74
	v_mfma_i32_16x16x32_i8 v[152:155], a[48:49], v[192:193], v[152:155]// 000000006FA0: D3D70098 0E638130
	buffer_load_dwordx4 a[112:115], v35, s[92:95], 0 offen     // 000000006FA8: E05C1000 80977023
	v_mfma_i32_16x16x32_i8 v[152:155], a[50:51], v[194:195], v[152:155]// 000000006FB0: D3D70098 0E638532
	v_mfma_i32_16x16x32_i8 v[152:155], a[52:53], v[196:197], v[152:155]// 000000006FB8: D3D70098 0E638934
	v_mfma_i32_16x16x32_i8 v[152:155], a[54:55], v[198:199], v[152:155]// 000000006FC0: D3D70098 0E638D36
	v_mfma_i32_16x16x32_i8 v[152:155], a[56:57], v[200:201], v[152:155]// 000000006FC8: D3D70098 0E639138
	buffer_load_dwordx4 a[116:119], v35, s[92:95], 0 offen offset:1024// 000000006FD0: E05C1400 80977423
	v_mfma_i32_16x16x32_i8 v[152:155], a[58:59], v[202:203], v[152:155]// 000000006FD8: D3D70098 0E63953A
	v_mfma_i32_16x16x32_i8 v[152:155], a[60:61], v[204:205], v[152:155]// 000000006FE0: D3D70098 0E63993C
	v_mfma_i32_16x16x32_i8 v[152:155], a[62:63], v[206:207], v[152:155]// 000000006FE8: D3D70098 0E639D3E
	v_mfma_i32_16x16x32_i8 v[156:159], a[48:49], v[208:209], v[156:159]// 000000006FF0: D3D7009C 0E73A130
	buffer_load_dwordx4 a[120:123], v35, s[92:95], 0 offen offset:2048// 000000006FF8: E05C1800 80977823
	v_mfma_i32_16x16x32_i8 v[156:159], a[50:51], v[210:211], v[156:159]// 000000007000: D3D7009C 0E73A532
	v_mfma_i32_16x16x32_i8 v[156:159], a[52:53], v[212:213], v[156:159]// 000000007008: D3D7009C 0E73A934
	v_mfma_i32_16x16x32_i8 v[156:159], a[54:55], v[214:215], v[156:159]// 000000007010: D3D7009C 0E73AD36
	v_mfma_i32_16x16x32_i8 v[156:159], a[56:57], v[216:217], v[156:159]// 000000007018: D3D7009C 0E73B138
	buffer_load_dwordx4 a[124:127], v35, s[92:95], 0 offen offset:3072// 000000007020: E05C1C00 80977C23
	v_mfma_i32_16x16x32_i8 v[156:159], a[58:59], v[218:219], v[156:159]// 000000007028: D3D7009C 0E73B53A
	v_mfma_i32_16x16x32_i8 v[156:159], a[60:61], v[220:221], v[156:159]// 000000007030: D3D7009C 0E73B93C
	v_mfma_i32_16x16x32_i8 v[156:159], a[62:63], v[222:223], v[156:159]// 000000007038: D3D7009C 0E73BD3E
	s_waitcnt vmcnt(8)                                         // 000000007040: BF8C0F78
	s_barrier                                                  // 000000007044: BF8A0000
	v_mfma_i32_16x16x32_i8 v[64:67], a[64:65], v[192:193], v[64:67]// 000000007048: D3D70040 0D038140
	buffer_load_dwordx4 a[0:3], v32, s[24:27], 0 offen         // 000000007050: E05C1000 80860020
	v_mfma_i32_16x16x32_i8 v[64:67], a[66:67], v[194:195], v[64:67]// 000000007058: D3D70040 0D038542
	v_mfma_i32_16x16x32_i8 v[64:67], a[68:69], v[196:197], v[64:67]// 000000007060: D3D70040 0D038944
	v_mfma_i32_16x16x32_i8 v[64:67], a[70:71], v[198:199], v[64:67]// 000000007068: D3D70040 0D038D46
	v_mfma_i32_16x16x32_i8 v[64:67], a[72:73], v[200:201], v[64:67]// 000000007070: D3D70040 0D039148
	buffer_load_dwordx4 a[4:7], v32, s[24:27], 0 offen offset:1024// 000000007078: E05C1400 80860420
	v_mfma_i32_16x16x32_i8 v[64:67], a[74:75], v[202:203], v[64:67]// 000000007080: D3D70040 0D03954A
	v_mfma_i32_16x16x32_i8 v[64:67], a[76:77], v[204:205], v[64:67]// 000000007088: D3D70040 0D03994C
	v_mfma_i32_16x16x32_i8 v[64:67], a[78:79], v[206:207], v[64:67]// 000000007090: D3D70040 0D039D4E
	v_mfma_i32_16x16x32_i8 v[68:71], a[64:65], v[208:209], v[68:71]// 000000007098: D3D70044 0D13A140
	buffer_load_dwordx4 a[8:11], v32, s[24:27], 0 offen offset:2048// 0000000070A0: E05C1800 80860820
	v_mfma_i32_16x16x32_i8 v[68:71], a[66:67], v[210:211], v[68:71]// 0000000070A8: D3D70044 0D13A542
	v_mfma_i32_16x16x32_i8 v[68:71], a[68:69], v[212:213], v[68:71]// 0000000070B0: D3D70044 0D13A944
	v_mfma_i32_16x16x32_i8 v[68:71], a[70:71], v[214:215], v[68:71]// 0000000070B8: D3D70044 0D13AD46
	v_mfma_i32_16x16x32_i8 v[68:71], a[72:73], v[216:217], v[68:71]// 0000000070C0: D3D70044 0D13B148
	buffer_load_dwordx4 a[12:15], v32, s[24:27], 0 offen offset:3072// 0000000070C8: E05C1C00 80860C20
	v_mfma_i32_16x16x32_i8 v[68:71], a[74:75], v[218:219], v[68:71]// 0000000070D0: D3D70044 0D13B54A
	v_mfma_i32_16x16x32_i8 v[68:71], a[76:77], v[220:221], v[68:71]// 0000000070D8: D3D70044 0D13B94C
	v_mfma_i32_16x16x32_i8 v[68:71], a[78:79], v[222:223], v[68:71]// 0000000070E0: D3D70044 0D13BD4E
	v_mfma_i32_16x16x32_i8 v[72:75], a[80:81], v[192:193], v[72:75]// 0000000070E8: D3D70048 0D238150
	buffer_load_dwordx4 a[16:19], v33, s[24:27], 0 offen       // 0000000070F0: E05C1000 80861021
	v_mfma_i32_16x16x32_i8 v[72:75], a[82:83], v[194:195], v[72:75]// 0000000070F8: D3D70048 0D238552
	v_mfma_i32_16x16x32_i8 v[72:75], a[84:85], v[196:197], v[72:75]// 000000007100: D3D70048 0D238954
	v_mfma_i32_16x16x32_i8 v[72:75], a[86:87], v[198:199], v[72:75]// 000000007108: D3D70048 0D238D56
	v_mfma_i32_16x16x32_i8 v[72:75], a[88:89], v[200:201], v[72:75]// 000000007110: D3D70048 0D239158
	buffer_load_dwordx4 a[20:23], v33, s[24:27], 0 offen offset:1024// 000000007118: E05C1400 80861421
	v_mfma_i32_16x16x32_i8 v[72:75], a[90:91], v[202:203], v[72:75]// 000000007120: D3D70048 0D23955A
	v_mfma_i32_16x16x32_i8 v[72:75], a[92:93], v[204:205], v[72:75]// 000000007128: D3D70048 0D23995C
	v_mfma_i32_16x16x32_i8 v[72:75], a[94:95], v[206:207], v[72:75]// 000000007130: D3D70048 0D239D5E
	v_mfma_i32_16x16x32_i8 v[76:79], a[80:81], v[208:209], v[76:79]// 000000007138: D3D7004C 0D33A150
	buffer_load_dwordx4 a[24:27], v33, s[24:27], 0 offen offset:2048// 000000007140: E05C1800 80861821
	v_mfma_i32_16x16x32_i8 v[76:79], a[82:83], v[210:211], v[76:79]// 000000007148: D3D7004C 0D33A552
	v_mfma_i32_16x16x32_i8 v[76:79], a[84:85], v[212:213], v[76:79]// 000000007150: D3D7004C 0D33A954
	v_mfma_i32_16x16x32_i8 v[76:79], a[86:87], v[214:215], v[76:79]// 000000007158: D3D7004C 0D33AD56
	v_mfma_i32_16x16x32_i8 v[76:79], a[88:89], v[216:217], v[76:79]// 000000007160: D3D7004C 0D33B158
	buffer_load_dwordx4 a[28:31], v33, s[24:27], 0 offen offset:3072// 000000007168: E05C1C00 80861C21
	v_mfma_i32_16x16x32_i8 v[76:79], a[90:91], v[218:219], v[76:79]// 000000007170: D3D7004C 0D33B55A
	v_mfma_i32_16x16x32_i8 v[76:79], a[92:93], v[220:221], v[76:79]// 000000007178: D3D7004C 0D33B95C
	v_mfma_i32_16x16x32_i8 v[76:79], a[94:95], v[222:223], v[76:79]// 000000007180: D3D7004C 0D33BD5E
	s_waitcnt vmcnt(12)                                        // 000000007188: BF8C0F7C
	v_mfma_i32_16x16x32_i8 v[80:83], a[96:97], v[192:193], v[80:83]// 00000000718C: D3D70050 0D438160
	buffer_load_dwordx4 a[32:35], v34, s[24:27], 0 offen       // 000000007194: E05C1000 80862022
	v_mfma_i32_16x16x32_i8 v[80:83], a[98:99], v[194:195], v[80:83]// 00000000719C: D3D70050 0D438562
	v_mfma_i32_16x16x32_i8 v[80:83], a[100:101], v[196:197], v[80:83]// 0000000071A4: D3D70050 0D438964
	ds_read_b128 v[160:163], v2                                // 0000000071AC: D9FE0000 A0000002
	v_mfma_i32_16x16x32_i8 v[80:83], a[102:103], v[198:199], v[80:83]// 0000000071B4: D3D70050 0D438D66
	v_mfma_i32_16x16x32_i8 v[80:83], a[104:105], v[200:201], v[80:83]// 0000000071BC: D3D70050 0D439168
	buffer_load_dwordx4 a[36:39], v34, s[24:27], 0 offen offset:1024// 0000000071C4: E05C1400 80862422
	v_mfma_i32_16x16x32_i8 v[80:83], a[106:107], v[202:203], v[80:83]// 0000000071CC: D3D70050 0D43956A
	v_mfma_i32_16x16x32_i8 v[80:83], a[108:109], v[204:205], v[80:83]// 0000000071D4: D3D70050 0D43996C
	ds_read_b128 v[164:167], v2 offset:64                      // 0000000071DC: D9FE0040 A4000002
	v_mfma_i32_16x16x32_i8 v[80:83], a[110:111], v[206:207], v[80:83]// 0000000071E4: D3D70050 0D439D6E
	v_mfma_i32_16x16x32_i8 v[84:87], a[96:97], v[208:209], v[84:87]// 0000000071EC: D3D70054 0D53A160
	buffer_load_dwordx4 a[40:43], v34, s[24:27], 0 offen offset:2048// 0000000071F4: E05C1800 80862822
	v_mfma_i32_16x16x32_i8 v[84:87], a[98:99], v[210:211], v[84:87]// 0000000071FC: D3D70054 0D53A562
	v_mfma_i32_16x16x32_i8 v[84:87], a[100:101], v[212:213], v[84:87]// 000000007204: D3D70054 0D53A964
	ds_read_b128 v[168:171], v2 offset:128                     // 00000000720C: D9FE0080 A8000002
	v_mfma_i32_16x16x32_i8 v[84:87], a[102:103], v[214:215], v[84:87]// 000000007214: D3D70054 0D53AD66
	v_mfma_i32_16x16x32_i8 v[84:87], a[104:105], v[216:217], v[84:87]// 00000000721C: D3D70054 0D53B168
	buffer_load_dwordx4 a[44:47], v34, s[24:27], 0 offen offset:3072// 000000007224: E05C1C00 80862C22
	v_mfma_i32_16x16x32_i8 v[84:87], a[106:107], v[218:219], v[84:87]// 00000000722C: D3D70054 0D53B56A
	v_mfma_i32_16x16x32_i8 v[84:87], a[108:109], v[220:221], v[84:87]// 000000007234: D3D70054 0D53B96C
	ds_read_b128 v[172:175], v2 offset:192                     // 00000000723C: D9FE00C0 AC000002
	v_mfma_i32_16x16x32_i8 v[84:87], a[110:111], v[222:223], v[84:87]// 000000007244: D3D70054 0D53BD6E
	s_waitcnt vmcnt(12)                                        // 00000000724C: BF8C0F7C
	v_mfma_i32_16x16x32_i8 v[88:91], a[112:113], v[192:193], v[88:91]// 000000007250: D3D70058 0D638170
	buffer_load_dwordx4 a[48:51], v35, s[24:27], 0 offen       // 000000007258: E05C1000 80863023
	v_mfma_i32_16x16x32_i8 v[88:91], a[114:115], v[194:195], v[88:91]// 000000007260: D3D70058 0D638572
	v_mfma_i32_16x16x32_i8 v[88:91], a[116:117], v[196:197], v[88:91]// 000000007268: D3D70058 0D638974
	ds_read_b128 v[176:179], v2 offset:1024                    // 000000007270: D9FE0400 B0000002
	v_mfma_i32_16x16x32_i8 v[88:91], a[118:119], v[198:199], v[88:91]// 000000007278: D3D70058 0D638D76
	v_mfma_i32_16x16x32_i8 v[88:91], a[120:121], v[200:201], v[88:91]// 000000007280: D3D70058 0D639178
	buffer_load_dwordx4 a[52:55], v35, s[24:27], 0 offen offset:1024// 000000007288: E05C1400 80863423
	v_mfma_i32_16x16x32_i8 v[88:91], a[122:123], v[202:203], v[88:91]// 000000007290: D3D70058 0D63957A
	v_mfma_i32_16x16x32_i8 v[88:91], a[124:125], v[204:205], v[88:91]// 000000007298: D3D70058 0D63997C
	ds_read_b128 v[180:183], v2 offset:1088                    // 0000000072A0: D9FE0440 B4000002
	v_mfma_i32_16x16x32_i8 v[88:91], a[126:127], v[206:207], v[88:91]// 0000000072A8: D3D70058 0D639D7E
	v_mfma_i32_16x16x32_i8 v[92:95], a[112:113], v[208:209], v[92:95]// 0000000072B0: D3D7005C 0D73A170
	buffer_load_dwordx4 a[56:59], v35, s[24:27], 0 offen offset:2048// 0000000072B8: E05C1800 80863823
	v_mfma_i32_16x16x32_i8 v[92:95], a[114:115], v[210:211], v[92:95]// 0000000072C0: D3D7005C 0D73A572
	v_mfma_i32_16x16x32_i8 v[92:95], a[116:117], v[212:213], v[92:95]// 0000000072C8: D3D7005C 0D73A974
	ds_read_b128 v[184:187], v2 offset:1152                    // 0000000072D0: D9FE0480 B8000002
	v_mfma_i32_16x16x32_i8 v[92:95], a[118:119], v[214:215], v[92:95]// 0000000072D8: D3D7005C 0D73AD76
	v_mfma_i32_16x16x32_i8 v[92:95], a[120:121], v[216:217], v[92:95]// 0000000072E0: D3D7005C 0D73B178
	buffer_load_dwordx4 a[60:63], v35, s[24:27], 0 offen offset:3072// 0000000072E8: E05C1C00 80863C23
	v_mfma_i32_16x16x32_i8 v[92:95], a[122:123], v[218:219], v[92:95]// 0000000072F0: D3D7005C 0D73B57A
	v_mfma_i32_16x16x32_i8 v[92:95], a[124:125], v[220:221], v[92:95]// 0000000072F8: D3D7005C 0D73B97C
	ds_read_b128 v[188:191], v2 offset:1216                    // 000000007300: D9FE04C0 BC000002
	v_mfma_i32_16x16x32_i8 v[92:95], a[126:127], v[222:223], v[92:95]// 000000007308: D3D7005C 0D73BD7E
	s_add_u32 s60, 0x200, s80                                  // 000000007310: 803C50FF 00000200
	s_cmp_lt_u32 s60, s81                                      // 000000007318: BF0A513C
	s_cselect_b32 s57, s57, 0                                  // 00000000731C: 85398039
	s_add_u32 s60, 0x200, s80                                  // 000000007320: 803C50FF 00000200
	s_cmp_lt_u32 s60, s81                                      // 000000007328: BF0A513C
	s_cselect_b32 s58, s58, 0                                  // 00000000732C: 853A803A
	s_add_u32 s20, s57, s20                                    // 000000007330: 80141439
	s_addc_u32 s21, 0, s21                                     // 000000007334: 82151580
	s_add_u32 s24, s58, s24                                    // 000000007338: 8018183A
	s_addc_u32 s25, 0, s25                                     // 00000000733C: 82191980
	s_add_u32 s92, s90, s92                                    // 000000007340: 805C5C5A
	s_addc_u32 s93, 0, s93                                     // 000000007344: 825D5D80
	s_addk_i32 s80, 0x100                                      // 000000007348: B7500100
	s_cmp_lt_i32 s80, s81                                      // 00000000734C: BF045150
	s_cbranch_scc0 label_1156                                  // 000000007350: BF840001
	s_branch label_0E45                                        // 000000007354: BF82FCEF

0000000000007358 <label_1156>:
	s_mov_b32 s36, -1                                          // 000000007358: BEA400C1
	s_mov_b32 s37, -1                                          // 00000000735C: BEA500C1
	s_mov_b64 s[60:61], 0                                      // 000000007360: BEBC0180
	s_cmp_lt_u32 s82, s66                                      // 000000007364: BF0A4252
	s_cselect_b64 s[20:21], s[36:37], s[60:61]                 // 000000007368: 85943C24
	s_cmp_lt_u32 s83, s66                                      // 00000000736C: BF0A4253
	s_cselect_b64 s[22:23], s[36:37], s[60:61]                 // 000000007370: 85963C24
	s_cmp_lt_u32 s84, s66                                      // 000000007374: BF0A4254
	s_cselect_b64 s[24:25], s[36:37], s[60:61]                 // 000000007378: 85983C24
	s_cmp_lt_u32 s85, s66                                      // 00000000737C: BF0A4255
	s_cselect_b64 s[26:27], s[36:37], s[60:61]                 // 000000007380: 859A3C24
	s_cmp_lt_u32 s86, s66                                      // 000000007384: BF0A4256
	s_cselect_b64 s[28:29], s[36:37], s[60:61]                 // 000000007388: 859C3C24
	s_cmp_lt_u32 s87, s66                                      // 00000000738C: BF0A4257
	s_cselect_b64 s[30:31], s[36:37], s[60:61]                 // 000000007390: 859E3C24
	s_cmp_lt_u32 s88, s66                                      // 000000007394: BF0A4258
	s_cselect_b64 s[32:33], s[36:37], s[60:61]                 // 000000007398: 85A03C24
	s_cmp_lt_u32 s89, s66                                      // 00000000739C: BF0A4259
	s_cselect_b64 s[34:35], s[36:37], s[60:61]                 // 0000000073A0: 85A23C24
	v_cvt_f32_i32_e32 v128, v128                               // 0000000073A4: 7F000B80
	v_cvt_f32_i32_e32 v129, v129                               // 0000000073A8: 7F020B81
	v_cvt_f32_i32_e32 v130, v130                               // 0000000073AC: 7F040B82
	v_cvt_f32_i32_e32 v131, v131                               // 0000000073B0: 7F060B83
	v_mul_f32_e32 v128, v13, v128                              // 0000000073B4: 0B01010D
	v_mul_f32_e32 v129, v13, v129                              // 0000000073B8: 0B03030D
	v_mul_f32_e32 v130, v13, v130                              // 0000000073BC: 0B05050D
	v_mul_f32_e32 v131, v13, v131                              // 0000000073C0: 0B07070D
	v_mul_f32_dpp v128, v15, v128 row_newbcast:0 row_mask:0xf bank_mask:0xf// 0000000073C4: 0B0100FA FF01500F
	v_mul_f32_dpp v129, v15, v129 row_newbcast:1 row_mask:0xf bank_mask:0xf// 0000000073CC: 0B0302FA FF01510F
	v_mul_f32_dpp v130, v15, v130 row_newbcast:2 row_mask:0xf bank_mask:0xf// 0000000073D4: 0B0504FA FF01520F
	v_mul_f32_dpp v131, v15, v131 row_newbcast:3 row_mask:0xf bank_mask:0xf// 0000000073DC: 0B0706FA FF01530F
	v_cvt_f32_i32_e32 v132, v132                               // 0000000073E4: 7F080B84
	v_cvt_f32_i32_e32 v133, v133                               // 0000000073E8: 7F0A0B85
	v_cvt_f32_i32_e32 v134, v134                               // 0000000073EC: 7F0C0B86
	v_cvt_f32_i32_e32 v135, v135                               // 0000000073F0: 7F0E0B87
	v_mul_f32_e32 v132, v14, v132                              // 0000000073F4: 0B09090E
	v_mul_f32_e32 v133, v14, v133                              // 0000000073F8: 0B0B0B0E
	v_mul_f32_e32 v134, v14, v134                              // 0000000073FC: 0B0D0D0E
	v_mul_f32_e32 v135, v14, v135                              // 000000007400: 0B0F0F0E
	v_mul_f32_dpp v132, v15, v132 row_newbcast:0 row_mask:0xf bank_mask:0xf// 000000007404: 0B0908FA FF01500F
	v_mul_f32_dpp v133, v15, v133 row_newbcast:1 row_mask:0xf bank_mask:0xf// 00000000740C: 0B0B0AFA FF01510F
	v_mul_f32_dpp v134, v15, v134 row_newbcast:2 row_mask:0xf bank_mask:0xf// 000000007414: 0B0D0CFA FF01520F
	v_mul_f32_dpp v135, v15, v135 row_newbcast:3 row_mask:0xf bank_mask:0xf// 00000000741C: 0B0F0EFA FF01530F
	v_cvt_f32_i32_e32 v136, v136                               // 000000007424: 7F100B88
	v_cvt_f32_i32_e32 v137, v137                               // 000000007428: 7F120B89
	v_cvt_f32_i32_e32 v138, v138                               // 00000000742C: 7F140B8A
	v_cvt_f32_i32_e32 v139, v139                               // 000000007430: 7F160B8B
	v_mul_f32_e32 v136, v13, v136                              // 000000007434: 0B11110D
	v_mul_f32_e32 v137, v13, v137                              // 000000007438: 0B13130D
	v_mul_f32_e32 v138, v13, v138                              // 00000000743C: 0B15150D
	v_mul_f32_e32 v139, v13, v139                              // 000000007440: 0B17170D
	v_mul_f32_dpp v136, v15, v136 row_newbcast:4 row_mask:0xf bank_mask:0xf// 000000007444: 0B1110FA FF01540F
	v_mul_f32_dpp v137, v15, v137 row_newbcast:5 row_mask:0xf bank_mask:0xf// 00000000744C: 0B1312FA FF01550F
	v_mul_f32_dpp v138, v15, v138 row_newbcast:6 row_mask:0xf bank_mask:0xf// 000000007454: 0B1514FA FF01560F
	v_mul_f32_dpp v139, v15, v139 row_newbcast:7 row_mask:0xf bank_mask:0xf// 00000000745C: 0B1716FA FF01570F
	v_cvt_f32_i32_e32 v140, v140                               // 000000007464: 7F180B8C
	v_cvt_f32_i32_e32 v141, v141                               // 000000007468: 7F1A0B8D
	v_cvt_f32_i32_e32 v142, v142                               // 00000000746C: 7F1C0B8E
	v_cvt_f32_i32_e32 v143, v143                               // 000000007470: 7F1E0B8F
	v_mul_f32_e32 v140, v14, v140                              // 000000007474: 0B19190E
	v_mul_f32_e32 v141, v14, v141                              // 000000007478: 0B1B1B0E
	v_mul_f32_e32 v142, v14, v142                              // 00000000747C: 0B1D1D0E
	v_mul_f32_e32 v143, v14, v143                              // 000000007480: 0B1F1F0E
	v_mul_f32_dpp v140, v15, v140 row_newbcast:4 row_mask:0xf bank_mask:0xf// 000000007484: 0B1918FA FF01540F
	v_mul_f32_dpp v141, v15, v141 row_newbcast:5 row_mask:0xf bank_mask:0xf// 00000000748C: 0B1B1AFA FF01550F
	v_mul_f32_dpp v142, v15, v142 row_newbcast:6 row_mask:0xf bank_mask:0xf// 000000007494: 0B1D1CFA FF01560F
	v_mul_f32_dpp v143, v15, v143 row_newbcast:7 row_mask:0xf bank_mask:0xf// 00000000749C: 0B1F1EFA FF01570F
	v_cvt_f32_i32_e32 v144, v144                               // 0000000074A4: 7F200B90
	v_cvt_f32_i32_e32 v145, v145                               // 0000000074A8: 7F220B91
	v_cvt_f32_i32_e32 v146, v146                               // 0000000074AC: 7F240B92
	v_cvt_f32_i32_e32 v147, v147                               // 0000000074B0: 7F260B93
	v_mul_f32_e32 v144, v13, v144                              // 0000000074B4: 0B21210D
	v_mul_f32_e32 v145, v13, v145                              // 0000000074B8: 0B23230D
	v_mul_f32_e32 v146, v13, v146                              // 0000000074BC: 0B25250D
	v_mul_f32_e32 v147, v13, v147                              // 0000000074C0: 0B27270D
	v_mul_f32_dpp v144, v15, v144 row_newbcast:8 row_mask:0xf bank_mask:0xf// 0000000074C4: 0B2120FA FF01580F
	v_mul_f32_dpp v145, v15, v145 row_newbcast:9 row_mask:0xf bank_mask:0xf// 0000000074CC: 0B2322FA FF01590F
	v_mul_f32_dpp v146, v15, v146 row_newbcast:10 row_mask:0xf bank_mask:0xf// 0000000074D4: 0B2524FA FF015A0F
	v_mul_f32_dpp v147, v15, v147 row_newbcast:11 row_mask:0xf bank_mask:0xf// 0000000074DC: 0B2726FA FF015B0F
	v_cvt_f32_i32_e32 v148, v148                               // 0000000074E4: 7F280B94
	v_cvt_f32_i32_e32 v149, v149                               // 0000000074E8: 7F2A0B95
	v_cvt_f32_i32_e32 v150, v150                               // 0000000074EC: 7F2C0B96
	v_cvt_f32_i32_e32 v151, v151                               // 0000000074F0: 7F2E0B97
	v_mul_f32_e32 v148, v14, v148                              // 0000000074F4: 0B29290E
	v_mul_f32_e32 v149, v14, v149                              // 0000000074F8: 0B2B2B0E
	v_mul_f32_e32 v150, v14, v150                              // 0000000074FC: 0B2D2D0E
	v_mul_f32_e32 v151, v14, v151                              // 000000007500: 0B2F2F0E
	v_mul_f32_dpp v148, v15, v148 row_newbcast:8 row_mask:0xf bank_mask:0xf// 000000007504: 0B2928FA FF01580F
	v_mul_f32_dpp v149, v15, v149 row_newbcast:9 row_mask:0xf bank_mask:0xf// 00000000750C: 0B2B2AFA FF01590F
	v_mul_f32_dpp v150, v15, v150 row_newbcast:10 row_mask:0xf bank_mask:0xf// 000000007514: 0B2D2CFA FF015A0F
	v_mul_f32_dpp v151, v15, v151 row_newbcast:11 row_mask:0xf bank_mask:0xf// 00000000751C: 0B2F2EFA FF015B0F
	v_cvt_f32_i32_e32 v152, v152                               // 000000007524: 7F300B98
	v_cvt_f32_i32_e32 v153, v153                               // 000000007528: 7F320B99
	v_cvt_f32_i32_e32 v154, v154                               // 00000000752C: 7F340B9A
	v_cvt_f32_i32_e32 v155, v155                               // 000000007530: 7F360B9B
	v_mul_f32_e32 v152, v13, v152                              // 000000007534: 0B31310D
	v_mul_f32_e32 v153, v13, v153                              // 000000007538: 0B33330D
	v_mul_f32_e32 v154, v13, v154                              // 00000000753C: 0B35350D
	v_mul_f32_e32 v155, v13, v155                              // 000000007540: 0B37370D
	v_mul_f32_dpp v152, v15, v152 row_newbcast:12 row_mask:0xf bank_mask:0xf// 000000007544: 0B3130FA FF015C0F
	v_mul_f32_dpp v153, v15, v153 row_newbcast:13 row_mask:0xf bank_mask:0xf// 00000000754C: 0B3332FA FF015D0F
	v_mul_f32_dpp v154, v15, v154 row_newbcast:14 row_mask:0xf bank_mask:0xf// 000000007554: 0B3534FA FF015E0F
	v_mul_f32_dpp v155, v15, v155 row_newbcast:15 row_mask:0xf bank_mask:0xf// 00000000755C: 0B3736FA FF015F0F
	v_cvt_f32_i32_e32 v156, v156                               // 000000007564: 7F380B9C
	v_cvt_f32_i32_e32 v157, v157                               // 000000007568: 7F3A0B9D
	v_cvt_f32_i32_e32 v158, v158                               // 00000000756C: 7F3C0B9E
	v_cvt_f32_i32_e32 v159, v159                               // 000000007570: 7F3E0B9F
	v_mul_f32_e32 v156, v14, v156                              // 000000007574: 0B39390E
	v_mul_f32_e32 v157, v14, v157                              // 000000007578: 0B3B3B0E
	v_mul_f32_e32 v158, v14, v158                              // 00000000757C: 0B3D3D0E
	v_mul_f32_e32 v159, v14, v159                              // 000000007580: 0B3F3F0E
	v_mul_f32_dpp v156, v15, v156 row_newbcast:12 row_mask:0xf bank_mask:0xf// 000000007584: 0B3938FA FF015C0F
	v_mul_f32_dpp v157, v15, v157 row_newbcast:13 row_mask:0xf bank_mask:0xf// 00000000758C: 0B3B3AFA FF015D0F
	v_mul_f32_dpp v158, v15, v158 row_newbcast:14 row_mask:0xf bank_mask:0xf// 000000007594: 0B3D3CFA FF015E0F
	v_mul_f32_dpp v159, v15, v159 row_newbcast:15 row_mask:0xf bank_mask:0xf// 00000000759C: 0B3F3EFA FF015F0F
	v_cvt_f32_i32_e32 v64, v64                                 // 0000000075A4: 7E800B40
	v_cvt_f32_i32_e32 v65, v65                                 // 0000000075A8: 7E820B41
	v_cvt_f32_i32_e32 v66, v66                                 // 0000000075AC: 7E840B42
	v_cvt_f32_i32_e32 v67, v67                                 // 0000000075B0: 7E860B43
	v_mul_f32_e32 v64, v13, v64                                // 0000000075B4: 0A80810D
	v_mul_f32_e32 v65, v13, v65                                // 0000000075B8: 0A82830D
	v_mul_f32_e32 v66, v13, v66                                // 0000000075BC: 0A84850D
	v_mul_f32_e32 v67, v13, v67                                // 0000000075C0: 0A86870D
	v_mul_f32_dpp v64, v44, v64 row_newbcast:0 row_mask:0xf bank_mask:0xf// 0000000075C4: 0A8080FA FF01502C
	v_mul_f32_dpp v65, v44, v65 row_newbcast:1 row_mask:0xf bank_mask:0xf// 0000000075CC: 0A8282FA FF01512C
	v_mul_f32_dpp v66, v44, v66 row_newbcast:2 row_mask:0xf bank_mask:0xf// 0000000075D4: 0A8484FA FF01522C
	v_mul_f32_dpp v67, v44, v67 row_newbcast:3 row_mask:0xf bank_mask:0xf// 0000000075DC: 0A8686FA FF01532C
	v_cvt_f32_i32_e32 v68, v68                                 // 0000000075E4: 7E880B44
	v_cvt_f32_i32_e32 v69, v69                                 // 0000000075E8: 7E8A0B45
	v_cvt_f32_i32_e32 v70, v70                                 // 0000000075EC: 7E8C0B46
	v_cvt_f32_i32_e32 v71, v71                                 // 0000000075F0: 7E8E0B47
	v_mul_f32_e32 v68, v14, v68                                // 0000000075F4: 0A88890E
	v_mul_f32_e32 v69, v14, v69                                // 0000000075F8: 0A8A8B0E
	v_mul_f32_e32 v70, v14, v70                                // 0000000075FC: 0A8C8D0E
	v_mul_f32_e32 v71, v14, v71                                // 000000007600: 0A8E8F0E
	v_mul_f32_dpp v68, v44, v68 row_newbcast:0 row_mask:0xf bank_mask:0xf// 000000007604: 0A8888FA FF01502C
	v_mul_f32_dpp v69, v44, v69 row_newbcast:1 row_mask:0xf bank_mask:0xf// 00000000760C: 0A8A8AFA FF01512C
	v_mul_f32_dpp v70, v44, v70 row_newbcast:2 row_mask:0xf bank_mask:0xf// 000000007614: 0A8C8CFA FF01522C
	v_mul_f32_dpp v71, v44, v71 row_newbcast:3 row_mask:0xf bank_mask:0xf// 00000000761C: 0A8E8EFA FF01532C
	v_cvt_f32_i32_e32 v72, v72                                 // 000000007624: 7E900B48
	v_cvt_f32_i32_e32 v73, v73                                 // 000000007628: 7E920B49
	v_cvt_f32_i32_e32 v74, v74                                 // 00000000762C: 7E940B4A
	v_cvt_f32_i32_e32 v75, v75                                 // 000000007630: 7E960B4B
	v_mul_f32_e32 v72, v13, v72                                // 000000007634: 0A90910D
	v_mul_f32_e32 v73, v13, v73                                // 000000007638: 0A92930D
	v_mul_f32_e32 v74, v13, v74                                // 00000000763C: 0A94950D
	v_mul_f32_e32 v75, v13, v75                                // 000000007640: 0A96970D
	v_mul_f32_dpp v72, v44, v72 row_newbcast:4 row_mask:0xf bank_mask:0xf// 000000007644: 0A9090FA FF01542C
	v_mul_f32_dpp v73, v44, v73 row_newbcast:5 row_mask:0xf bank_mask:0xf// 00000000764C: 0A9292FA FF01552C
	v_mul_f32_dpp v74, v44, v74 row_newbcast:6 row_mask:0xf bank_mask:0xf// 000000007654: 0A9494FA FF01562C
	v_mul_f32_dpp v75, v44, v75 row_newbcast:7 row_mask:0xf bank_mask:0xf// 00000000765C: 0A9696FA FF01572C
	v_cvt_f32_i32_e32 v76, v76                                 // 000000007664: 7E980B4C
	v_cvt_f32_i32_e32 v77, v77                                 // 000000007668: 7E9A0B4D
	v_cvt_f32_i32_e32 v78, v78                                 // 00000000766C: 7E9C0B4E
	v_cvt_f32_i32_e32 v79, v79                                 // 000000007670: 7E9E0B4F
	v_mul_f32_e32 v76, v14, v76                                // 000000007674: 0A98990E
	v_mul_f32_e32 v77, v14, v77                                // 000000007678: 0A9A9B0E
	v_mul_f32_e32 v78, v14, v78                                // 00000000767C: 0A9C9D0E
	v_mul_f32_e32 v79, v14, v79                                // 000000007680: 0A9E9F0E
	v_mul_f32_dpp v76, v44, v76 row_newbcast:4 row_mask:0xf bank_mask:0xf// 000000007684: 0A9898FA FF01542C
	v_mul_f32_dpp v77, v44, v77 row_newbcast:5 row_mask:0xf bank_mask:0xf// 00000000768C: 0A9A9AFA FF01552C
	v_mul_f32_dpp v78, v44, v78 row_newbcast:6 row_mask:0xf bank_mask:0xf// 000000007694: 0A9C9CFA FF01562C
	v_mul_f32_dpp v79, v44, v79 row_newbcast:7 row_mask:0xf bank_mask:0xf// 00000000769C: 0A9E9EFA FF01572C
	v_cvt_f32_i32_e32 v80, v80                                 // 0000000076A4: 7EA00B50
	v_cvt_f32_i32_e32 v81, v81                                 // 0000000076A8: 7EA20B51
	v_cvt_f32_i32_e32 v82, v82                                 // 0000000076AC: 7EA40B52
	v_cvt_f32_i32_e32 v83, v83                                 // 0000000076B0: 7EA60B53
	v_mul_f32_e32 v80, v13, v80                                // 0000000076B4: 0AA0A10D
	v_mul_f32_e32 v81, v13, v81                                // 0000000076B8: 0AA2A30D
	v_mul_f32_e32 v82, v13, v82                                // 0000000076BC: 0AA4A50D
	v_mul_f32_e32 v83, v13, v83                                // 0000000076C0: 0AA6A70D
	v_mul_f32_dpp v80, v44, v80 row_newbcast:8 row_mask:0xf bank_mask:0xf// 0000000076C4: 0AA0A0FA FF01582C
	v_mul_f32_dpp v81, v44, v81 row_newbcast:9 row_mask:0xf bank_mask:0xf// 0000000076CC: 0AA2A2FA FF01592C
	v_mul_f32_dpp v82, v44, v82 row_newbcast:10 row_mask:0xf bank_mask:0xf// 0000000076D4: 0AA4A4FA FF015A2C
	v_mul_f32_dpp v83, v44, v83 row_newbcast:11 row_mask:0xf bank_mask:0xf// 0000000076DC: 0AA6A6FA FF015B2C
	v_cvt_f32_i32_e32 v84, v84                                 // 0000000076E4: 7EA80B54
	v_cvt_f32_i32_e32 v85, v85                                 // 0000000076E8: 7EAA0B55
	v_cvt_f32_i32_e32 v86, v86                                 // 0000000076EC: 7EAC0B56
	v_cvt_f32_i32_e32 v87, v87                                 // 0000000076F0: 7EAE0B57
	v_mul_f32_e32 v84, v14, v84                                // 0000000076F4: 0AA8A90E
	v_mul_f32_e32 v85, v14, v85                                // 0000000076F8: 0AAAAB0E
	v_mul_f32_e32 v86, v14, v86                                // 0000000076FC: 0AACAD0E
	v_mul_f32_e32 v87, v14, v87                                // 000000007700: 0AAEAF0E
	v_mul_f32_dpp v84, v44, v84 row_newbcast:8 row_mask:0xf bank_mask:0xf// 000000007704: 0AA8A8FA FF01582C
	v_mul_f32_dpp v85, v44, v85 row_newbcast:9 row_mask:0xf bank_mask:0xf// 00000000770C: 0AAAAAFA FF01592C
	v_mul_f32_dpp v86, v44, v86 row_newbcast:10 row_mask:0xf bank_mask:0xf// 000000007714: 0AACACFA FF015A2C
	v_mul_f32_dpp v87, v44, v87 row_newbcast:11 row_mask:0xf bank_mask:0xf// 00000000771C: 0AAEAEFA FF015B2C
	v_cvt_f32_i32_e32 v88, v88                                 // 000000007724: 7EB00B58
	v_cvt_f32_i32_e32 v89, v89                                 // 000000007728: 7EB20B59
	v_cvt_f32_i32_e32 v90, v90                                 // 00000000772C: 7EB40B5A
	v_cvt_f32_i32_e32 v91, v91                                 // 000000007730: 7EB60B5B
	v_mul_f32_e32 v88, v13, v88                                // 000000007734: 0AB0B10D
	v_mul_f32_e32 v89, v13, v89                                // 000000007738: 0AB2B30D
	v_mul_f32_e32 v90, v13, v90                                // 00000000773C: 0AB4B50D
	v_mul_f32_e32 v91, v13, v91                                // 000000007740: 0AB6B70D
	v_mul_f32_dpp v88, v44, v88 row_newbcast:12 row_mask:0xf bank_mask:0xf// 000000007744: 0AB0B0FA FF015C2C
	v_mul_f32_dpp v89, v44, v89 row_newbcast:13 row_mask:0xf bank_mask:0xf// 00000000774C: 0AB2B2FA FF015D2C
	v_mul_f32_dpp v90, v44, v90 row_newbcast:14 row_mask:0xf bank_mask:0xf// 000000007754: 0AB4B4FA FF015E2C
	v_mul_f32_dpp v91, v44, v91 row_newbcast:15 row_mask:0xf bank_mask:0xf// 00000000775C: 0AB6B6FA FF015F2C
	v_cvt_f32_i32_e32 v92, v92                                 // 000000007764: 7EB80B5C
	v_cvt_f32_i32_e32 v93, v93                                 // 000000007768: 7EBA0B5D
	v_cvt_f32_i32_e32 v94, v94                                 // 00000000776C: 7EBC0B5E
	v_cvt_f32_i32_e32 v95, v95                                 // 000000007770: 7EBE0B5F
	v_mul_f32_e32 v92, v14, v92                                // 000000007774: 0AB8B90E
	v_mul_f32_e32 v93, v14, v93                                // 000000007778: 0ABABB0E
	v_mul_f32_e32 v94, v14, v94                                // 00000000777C: 0ABCBD0E
	v_mul_f32_e32 v95, v14, v95                                // 000000007780: 0ABEBF0E
	v_mul_f32_dpp v92, v44, v92 row_newbcast:12 row_mask:0xf bank_mask:0xf// 000000007784: 0AB8B8FA FF015C2C
	v_mul_f32_dpp v93, v44, v93 row_newbcast:13 row_mask:0xf bank_mask:0xf// 00000000778C: 0ABABAFA FF015D2C
	v_mul_f32_dpp v94, v44, v94 row_newbcast:14 row_mask:0xf bank_mask:0xf// 000000007794: 0ABCBCFA FF015E2C
	v_mul_f32_dpp v95, v44, v95 row_newbcast:15 row_mask:0xf bank_mask:0xf// 00000000779C: 0ABEBEFA FF015F2C
	s_waitcnt vmcnt(12)                                        // 0000000077A4: BF8C0F7C
	buffer_load_dwordx4 a[0:3], v36, s[12:15], 0 offen         // 0000000077A8: E05C1000 80830024
	v_mul_f32_e64 v46, -v128, s6                               // 0000000077B0: D105002E 20000D80
	v_mul_f32_e64 v47, -v129, s6                               // 0000000077B8: D105002F 20000D81
	v_mul_f32_e64 v48, -v130, s6                               // 0000000077C0: D1050030 20000D82
	v_mul_f32_e64 v49, -v131, s6                               // 0000000077C8: D1050031 20000D83
	v_exp_f32_e32 v46, v46                                     // 0000000077D0: 7E5C412E
	v_exp_f32_e32 v47, v47                                     // 0000000077D4: 7E5E412F
	v_exp_f32_e32 v48, v48                                     // 0000000077D8: 7E604130
	v_exp_f32_e32 v49, v49                                     // 0000000077DC: 7E624131
	buffer_load_dwordx4 a[4:7], v37, s[12:15], 0 offen         // 0000000077E0: E05C1000 80830425
	v_add_f32_e64 v46, v46, 1.0                                // 0000000077E8: D101002E 0001E52E
	v_add_f32_e64 v47, v47, 1.0                                // 0000000077F0: D101002F 0001E52F
	v_add_f32_e64 v48, v48, 1.0                                // 0000000077F8: D1010030 0001E530
	v_add_f32_e64 v49, v49, 1.0                                // 000000007800: D1010031 0001E531
	v_rcp_f32_e32 v46, v46                                     // 000000007808: 7E5C452E
	v_rcp_f32_e32 v47, v47                                     // 00000000780C: 7E5E452F
	v_rcp_f32_e32 v48, v48                                     // 000000007810: 7E604530
	v_rcp_f32_e32 v49, v49                                     // 000000007814: 7E624531
	v_mul_f32_e32 v128, v128, v46                              // 000000007818: 0B005D80
	v_mul_f32_e32 v129, v129, v47                              // 00000000781C: 0B025F81
	v_mul_f32_e32 v130, v130, v48                              // 000000007820: 0B046182
	v_mul_f32_e32 v131, v131, v49                              // 000000007824: 0B066383
	v_mul_f32_e32 v128, v128, v64                              // 000000007828: 0B008180
	v_mul_f32_e32 v129, v129, v65                              // 00000000782C: 0B028381
	v_mul_f32_e32 v130, v130, v66                              // 000000007830: 0B048582
	v_mul_f32_e32 v131, v131, v67                              // 000000007834: 0B068783
	buffer_load_dwordx4 a[8:11], v38, s[12:15], 0 offen        // 000000007838: E05C1000 80830826
	v_mul_f32_e64 v46, -v132, s6                               // 000000007840: D105002E 20000D84
	v_mul_f32_e64 v47, -v133, s6                               // 000000007848: D105002F 20000D85
	v_mul_f32_e64 v48, -v134, s6                               // 000000007850: D1050030 20000D86
	v_mul_f32_e64 v49, -v135, s6                               // 000000007858: D1050031 20000D87
	v_exp_f32_e32 v46, v46                                     // 000000007860: 7E5C412E
	v_exp_f32_e32 v47, v47                                     // 000000007864: 7E5E412F
	v_exp_f32_e32 v48, v48                                     // 000000007868: 7E604130
	v_exp_f32_e32 v49, v49                                     // 00000000786C: 7E624131
	buffer_load_dwordx4 a[12:15], v39, s[12:15], 0 offen       // 000000007870: E05C1000 80830C27
	s_add_u32 s12, s78, s12                                    // 000000007878: 800C0C4E
	s_addc_u32 s13, 0, s13                                     // 00000000787C: 820D0D80
	v_add_f32_e64 v46, v46, 1.0                                // 000000007880: D101002E 0001E52E
	v_add_f32_e64 v47, v47, 1.0                                // 000000007888: D101002F 0001E52F
	v_add_f32_e64 v48, v48, 1.0                                // 000000007890: D1010030 0001E530
	v_add_f32_e64 v49, v49, 1.0                                // 000000007898: D1010031 0001E531
	v_rcp_f32_e32 v46, v46                                     // 0000000078A0: 7E5C452E
	v_rcp_f32_e32 v47, v47                                     // 0000000078A4: 7E5E452F
	v_rcp_f32_e32 v48, v48                                     // 0000000078A8: 7E604530
	v_rcp_f32_e32 v49, v49                                     // 0000000078AC: 7E624531
	v_mul_f32_e32 v132, v132, v46                              // 0000000078B0: 0B085D84
	v_mul_f32_e32 v133, v133, v47                              // 0000000078B4: 0B0A5F85
	v_mul_f32_e32 v134, v134, v48                              // 0000000078B8: 0B0C6186
	v_mul_f32_e32 v135, v135, v49                              // 0000000078BC: 0B0E6387
	v_mul_f32_e32 v132, v132, v68                              // 0000000078C0: 0B088984
	v_mul_f32_e32 v133, v133, v69                              // 0000000078C4: 0B0A8B85
	v_mul_f32_e32 v134, v134, v70                              // 0000000078C8: 0B0C8D86
	v_mul_f32_e32 v135, v135, v71                              // 0000000078CC: 0B0E8F87
	s_waitcnt vmcnt(12)                                        // 0000000078D0: BF8C0F7C
	buffer_load_dwordx4 a[16:19], v36, s[12:15], 0 offen       // 0000000078D4: E05C1000 80831024
	v_mul_f32_e64 v46, -v136, s6                               // 0000000078DC: D105002E 20000D88
	v_mul_f32_e64 v47, -v137, s6                               // 0000000078E4: D105002F 20000D89
	v_mul_f32_e64 v48, -v138, s6                               // 0000000078EC: D1050030 20000D8A
	v_mul_f32_e64 v49, -v139, s6                               // 0000000078F4: D1050031 20000D8B
	v_exp_f32_e32 v46, v46                                     // 0000000078FC: 7E5C412E
	v_exp_f32_e32 v47, v47                                     // 000000007900: 7E5E412F
	v_exp_f32_e32 v48, v48                                     // 000000007904: 7E604130
	v_exp_f32_e32 v49, v49                                     // 000000007908: 7E624131
	buffer_load_dwordx4 a[20:23], v37, s[12:15], 0 offen       // 00000000790C: E05C1000 80831425
	v_add_f32_e64 v46, v46, 1.0                                // 000000007914: D101002E 0001E52E
	v_add_f32_e64 v47, v47, 1.0                                // 00000000791C: D101002F 0001E52F
	v_add_f32_e64 v48, v48, 1.0                                // 000000007924: D1010030 0001E530
	v_add_f32_e64 v49, v49, 1.0                                // 00000000792C: D1010031 0001E531
	v_rcp_f32_e32 v46, v46                                     // 000000007934: 7E5C452E
	v_rcp_f32_e32 v47, v47                                     // 000000007938: 7E5E452F
	v_rcp_f32_e32 v48, v48                                     // 00000000793C: 7E604530
	v_rcp_f32_e32 v49, v49                                     // 000000007940: 7E624531
	v_mul_f32_e32 v136, v136, v46                              // 000000007944: 0B105D88
	v_mul_f32_e32 v137, v137, v47                              // 000000007948: 0B125F89
	v_mul_f32_e32 v138, v138, v48                              // 00000000794C: 0B14618A
	v_mul_f32_e32 v139, v139, v49                              // 000000007950: 0B16638B
	v_mul_f32_e32 v136, v136, v72                              // 000000007954: 0B109188
	v_mul_f32_e32 v137, v137, v73                              // 000000007958: 0B129389
	v_mul_f32_e32 v138, v138, v74                              // 00000000795C: 0B14958A
	v_mul_f32_e32 v139, v139, v75                              // 000000007960: 0B16978B
	buffer_load_dwordx4 a[24:27], v38, s[12:15], 0 offen       // 000000007964: E05C1000 80831826
	v_mul_f32_e64 v46, -v140, s6                               // 00000000796C: D105002E 20000D8C
	v_mul_f32_e64 v47, -v141, s6                               // 000000007974: D105002F 20000D8D
	v_mul_f32_e64 v48, -v142, s6                               // 00000000797C: D1050030 20000D8E
	v_mul_f32_e64 v49, -v143, s6                               // 000000007984: D1050031 20000D8F
	v_exp_f32_e32 v46, v46                                     // 00000000798C: 7E5C412E
	v_exp_f32_e32 v47, v47                                     // 000000007990: 7E5E412F
	v_exp_f32_e32 v48, v48                                     // 000000007994: 7E604130
	v_exp_f32_e32 v49, v49                                     // 000000007998: 7E624131
	buffer_load_dwordx4 a[28:31], v39, s[12:15], 0 offen       // 00000000799C: E05C1000 80831C27
	s_add_u32 s12, s78, s12                                    // 0000000079A4: 800C0C4E
	s_addc_u32 s13, 0, s13                                     // 0000000079A8: 820D0D80
	v_add_f32_e64 v46, v46, 1.0                                // 0000000079AC: D101002E 0001E52E
	v_add_f32_e64 v47, v47, 1.0                                // 0000000079B4: D101002F 0001E52F
	v_add_f32_e64 v48, v48, 1.0                                // 0000000079BC: D1010030 0001E530
	v_add_f32_e64 v49, v49, 1.0                                // 0000000079C4: D1010031 0001E531
	v_rcp_f32_e32 v46, v46                                     // 0000000079CC: 7E5C452E
	v_rcp_f32_e32 v47, v47                                     // 0000000079D0: 7E5E452F
	v_rcp_f32_e32 v48, v48                                     // 0000000079D4: 7E604530
	v_rcp_f32_e32 v49, v49                                     // 0000000079D8: 7E624531
	v_mul_f32_e32 v140, v140, v46                              // 0000000079DC: 0B185D8C
	v_mul_f32_e32 v141, v141, v47                              // 0000000079E0: 0B1A5F8D
	v_mul_f32_e32 v142, v142, v48                              // 0000000079E4: 0B1C618E
	v_mul_f32_e32 v143, v143, v49                              // 0000000079E8: 0B1E638F
	v_mul_f32_e32 v140, v140, v76                              // 0000000079EC: 0B18998C
	v_mul_f32_e32 v141, v141, v77                              // 0000000079F0: 0B1A9B8D
	v_mul_f32_e32 v142, v142, v78                              // 0000000079F4: 0B1C9D8E
	v_mul_f32_e32 v143, v143, v79                              // 0000000079F8: 0B1E9F8F
	s_waitcnt vmcnt(12)                                        // 0000000079FC: BF8C0F7C
	buffer_load_dwordx4 a[32:35], v36, s[12:15], 0 offen       // 000000007A00: E05C1000 80832024
	v_mul_f32_e64 v46, -v144, s6                               // 000000007A08: D105002E 20000D90
	v_mul_f32_e64 v47, -v145, s6                               // 000000007A10: D105002F 20000D91
	v_mul_f32_e64 v48, -v146, s6                               // 000000007A18: D1050030 20000D92
	v_mul_f32_e64 v49, -v147, s6                               // 000000007A20: D1050031 20000D93
	v_exp_f32_e32 v46, v46                                     // 000000007A28: 7E5C412E
	v_exp_f32_e32 v47, v47                                     // 000000007A2C: 7E5E412F
	v_exp_f32_e32 v48, v48                                     // 000000007A30: 7E604130
	v_exp_f32_e32 v49, v49                                     // 000000007A34: 7E624131
	buffer_load_dwordx4 a[36:39], v37, s[12:15], 0 offen       // 000000007A38: E05C1000 80832425
	v_add_f32_e64 v46, v46, 1.0                                // 000000007A40: D101002E 0001E52E
	v_add_f32_e64 v47, v47, 1.0                                // 000000007A48: D101002F 0001E52F
	v_add_f32_e64 v48, v48, 1.0                                // 000000007A50: D1010030 0001E530
	v_add_f32_e64 v49, v49, 1.0                                // 000000007A58: D1010031 0001E531
	v_rcp_f32_e32 v46, v46                                     // 000000007A60: 7E5C452E
	v_rcp_f32_e32 v47, v47                                     // 000000007A64: 7E5E452F
	v_rcp_f32_e32 v48, v48                                     // 000000007A68: 7E604530
	v_rcp_f32_e32 v49, v49                                     // 000000007A6C: 7E624531
	v_mul_f32_e32 v144, v144, v46                              // 000000007A70: 0B205D90
	v_mul_f32_e32 v145, v145, v47                              // 000000007A74: 0B225F91
	v_mul_f32_e32 v146, v146, v48                              // 000000007A78: 0B246192
	v_mul_f32_e32 v147, v147, v49                              // 000000007A7C: 0B266393
	v_mul_f32_e32 v144, v144, v80                              // 000000007A80: 0B20A190
	v_mul_f32_e32 v145, v145, v81                              // 000000007A84: 0B22A391
	v_mul_f32_e32 v146, v146, v82                              // 000000007A88: 0B24A592
	v_mul_f32_e32 v147, v147, v83                              // 000000007A8C: 0B26A793
	buffer_load_dwordx4 a[40:43], v38, s[12:15], 0 offen       // 000000007A90: E05C1000 80832826
	v_mul_f32_e64 v46, -v148, s6                               // 000000007A98: D105002E 20000D94
	v_mul_f32_e64 v47, -v149, s6                               // 000000007AA0: D105002F 20000D95
	v_mul_f32_e64 v48, -v150, s6                               // 000000007AA8: D1050030 20000D96
	v_mul_f32_e64 v49, -v151, s6                               // 000000007AB0: D1050031 20000D97
	v_exp_f32_e32 v46, v46                                     // 000000007AB8: 7E5C412E
	v_exp_f32_e32 v47, v47                                     // 000000007ABC: 7E5E412F
	v_exp_f32_e32 v48, v48                                     // 000000007AC0: 7E604130
	v_exp_f32_e32 v49, v49                                     // 000000007AC4: 7E624131
	buffer_load_dwordx4 a[44:47], v39, s[12:15], 0 offen       // 000000007AC8: E05C1000 80832C27
	s_add_u32 s12, s78, s12                                    // 000000007AD0: 800C0C4E
	s_addc_u32 s13, 0, s13                                     // 000000007AD4: 820D0D80
	v_add_f32_e64 v46, v46, 1.0                                // 000000007AD8: D101002E 0001E52E
	v_add_f32_e64 v47, v47, 1.0                                // 000000007AE0: D101002F 0001E52F
	v_add_f32_e64 v48, v48, 1.0                                // 000000007AE8: D1010030 0001E530
	v_add_f32_e64 v49, v49, 1.0                                // 000000007AF0: D1010031 0001E531
	v_rcp_f32_e32 v46, v46                                     // 000000007AF8: 7E5C452E
	v_rcp_f32_e32 v47, v47                                     // 000000007AFC: 7E5E452F
	v_rcp_f32_e32 v48, v48                                     // 000000007B00: 7E604530
	v_rcp_f32_e32 v49, v49                                     // 000000007B04: 7E624531
	v_mul_f32_e32 v148, v148, v46                              // 000000007B08: 0B285D94
	v_mul_f32_e32 v149, v149, v47                              // 000000007B0C: 0B2A5F95
	v_mul_f32_e32 v150, v150, v48                              // 000000007B10: 0B2C6196
	v_mul_f32_e32 v151, v151, v49                              // 000000007B14: 0B2E6397
	v_mul_f32_e32 v148, v148, v84                              // 000000007B18: 0B28A994
	v_mul_f32_e32 v149, v149, v85                              // 000000007B1C: 0B2AAB95
	v_mul_f32_e32 v150, v150, v86                              // 000000007B20: 0B2CAD96
	v_mul_f32_e32 v151, v151, v87                              // 000000007B24: 0B2EAF97
	s_waitcnt vmcnt(12)                                        // 000000007B28: BF8C0F7C
	buffer_load_dwordx4 a[48:51], v36, s[12:15], 0 offen       // 000000007B2C: E05C1000 80833024
	v_mul_f32_e64 v46, -v152, s6                               // 000000007B34: D105002E 20000D98
	v_mul_f32_e64 v47, -v153, s6                               // 000000007B3C: D105002F 20000D99
	v_mul_f32_e64 v48, -v154, s6                               // 000000007B44: D1050030 20000D9A
	v_mul_f32_e64 v49, -v155, s6                               // 000000007B4C: D1050031 20000D9B
	v_exp_f32_e32 v46, v46                                     // 000000007B54: 7E5C412E
	v_exp_f32_e32 v47, v47                                     // 000000007B58: 7E5E412F
	v_exp_f32_e32 v48, v48                                     // 000000007B5C: 7E604130
	v_exp_f32_e32 v49, v49                                     // 000000007B60: 7E624131
	buffer_load_dwordx4 a[52:55], v37, s[12:15], 0 offen       // 000000007B64: E05C1000 80833425
	v_add_f32_e64 v46, v46, 1.0                                // 000000007B6C: D101002E 0001E52E
	v_add_f32_e64 v47, v47, 1.0                                // 000000007B74: D101002F 0001E52F
	v_add_f32_e64 v48, v48, 1.0                                // 000000007B7C: D1010030 0001E530
	v_add_f32_e64 v49, v49, 1.0                                // 000000007B84: D1010031 0001E531
	v_rcp_f32_e32 v46, v46                                     // 000000007B8C: 7E5C452E
	v_rcp_f32_e32 v47, v47                                     // 000000007B90: 7E5E452F
	v_rcp_f32_e32 v48, v48                                     // 000000007B94: 7E604530
	v_rcp_f32_e32 v49, v49                                     // 000000007B98: 7E624531
	v_mul_f32_e32 v152, v152, v46                              // 000000007B9C: 0B305D98
	v_mul_f32_e32 v153, v153, v47                              // 000000007BA0: 0B325F99
	v_mul_f32_e32 v154, v154, v48                              // 000000007BA4: 0B34619A
	v_mul_f32_e32 v155, v155, v49                              // 000000007BA8: 0B36639B
	v_mul_f32_e32 v152, v152, v88                              // 000000007BAC: 0B30B198
	v_mul_f32_e32 v153, v153, v89                              // 000000007BB0: 0B32B399
	v_mul_f32_e32 v154, v154, v90                              // 000000007BB4: 0B34B59A
	v_mul_f32_e32 v155, v155, v91                              // 000000007BB8: 0B36B79B
	buffer_load_dwordx4 a[56:59], v38, s[12:15], 0 offen       // 000000007BBC: E05C1000 80833826
	v_mul_f32_e64 v46, -v156, s6                               // 000000007BC4: D105002E 20000D9C
	v_mul_f32_e64 v47, -v157, s6                               // 000000007BCC: D105002F 20000D9D
	v_mul_f32_e64 v48, -v158, s6                               // 000000007BD4: D1050030 20000D9E
	v_mul_f32_e64 v49, -v159, s6                               // 000000007BDC: D1050031 20000D9F
	v_exp_f32_e32 v46, v46                                     // 000000007BE4: 7E5C412E
	v_exp_f32_e32 v47, v47                                     // 000000007BE8: 7E5E412F
	v_exp_f32_e32 v48, v48                                     // 000000007BEC: 7E604130
	v_exp_f32_e32 v49, v49                                     // 000000007BF0: 7E624131
	buffer_load_dwordx4 a[60:63], v39, s[12:15], 0 offen       // 000000007BF4: E05C1000 80833C27
	v_add_f32_e64 v46, v46, 1.0                                // 000000007BFC: D101002E 0001E52E
	v_add_f32_e64 v47, v47, 1.0                                // 000000007C04: D101002F 0001E52F
	v_add_f32_e64 v48, v48, 1.0                                // 000000007C0C: D1010030 0001E530
	v_add_f32_e64 v49, v49, 1.0                                // 000000007C14: D1010031 0001E531
	v_rcp_f32_e32 v46, v46                                     // 000000007C1C: 7E5C452E
	v_rcp_f32_e32 v47, v47                                     // 000000007C20: 7E5E452F
	v_rcp_f32_e32 v48, v48                                     // 000000007C24: 7E604530
	v_rcp_f32_e32 v49, v49                                     // 000000007C28: 7E624531
	v_mul_f32_e32 v156, v156, v46                              // 000000007C2C: 0B385D9C
	v_mul_f32_e32 v157, v157, v47                              // 000000007C30: 0B3A5F9D
	v_mul_f32_e32 v158, v158, v48                              // 000000007C34: 0B3C619E
	v_mul_f32_e32 v159, v159, v49                              // 000000007C38: 0B3E639F
	v_mul_f32_e32 v156, v156, v92                              // 000000007C3C: 0B38B99C
	v_mul_f32_e32 v157, v157, v93                              // 000000007C40: 0B3ABB9D
	v_mul_f32_e32 v158, v158, v94                              // 000000007C44: 0B3CBD9E
	v_mul_f32_e32 v159, v159, v95                              // 000000007C48: 0B3EBF9F
	v_lshlrev_b32_e32 v46, 2, v0                               // 000000007C4C: 245C0082
	s_mul_i32 s60, s82, s71                                    // 000000007C50: 923C4752
	v_add_u32_e64 v80, v46, s60                                // 000000007C54: D1340050 0000792E
	v_mov_b32_e32 v81, 0                                       // 000000007C5C: 7EA20280
	s_mul_i32 s60, s83, s71                                    // 000000007C60: 923C4753
	v_add_u32_e64 v82, v46, s60                                // 000000007C64: D1340052 0000792E
	v_mov_b32_e32 v83, 0                                       // 000000007C6C: 7EA60280
	s_mul_i32 s60, s84, s71                                    // 000000007C70: 923C4754
	v_add_u32_e64 v84, v46, s60                                // 000000007C74: D1340054 0000792E
	v_mov_b32_e32 v85, 0                                       // 000000007C7C: 7EAA0280
	s_mul_i32 s60, s85, s71                                    // 000000007C80: 923C4755
	v_add_u32_e64 v86, v46, s60                                // 000000007C84: D1340056 0000792E
	v_mov_b32_e32 v87, 0                                       // 000000007C8C: 7EAE0280
	s_mul_i32 s60, s86, s71                                    // 000000007C90: 923C4756
	v_add_u32_e64 v88, v46, s60                                // 000000007C94: D1340058 0000792E
	v_mov_b32_e32 v89, 0                                       // 000000007C9C: 7EB20280
	s_mul_i32 s60, s87, s71                                    // 000000007CA0: 923C4757
	v_add_u32_e64 v90, v46, s60                                // 000000007CA4: D134005A 0000792E
	v_mov_b32_e32 v91, 0                                       // 000000007CAC: 7EB60280
	s_mul_i32 s60, s88, s71                                    // 000000007CB0: 923C4758
	v_add_u32_e64 v92, v46, s60                                // 000000007CB4: D134005C 0000792E
	v_mov_b32_e32 v93, 0                                       // 000000007CBC: 7EBA0280
	s_mul_i32 s60, s89, s71                                    // 000000007CC0: 923C4759
	v_add_u32_e64 v94, v46, s60                                // 000000007CC4: D134005E 0000792E
	v_mov_b32_e32 v95, 0                                       // 000000007CCC: 7EBE0280
	buffer_load_dword v11, v5, s[16:19], 0 offen               // 000000007CD0: E0501000 80040B05
	v_mov_b32_e32 v20, 0x358637bd                              // 000000007CD8: 7E2802FF 358637BD
	v_mov_b32_e32 v21, 0x358637bd                              // 000000007CE0: 7E2A02FF 358637BD
	v_max3_f32 v20, |v128|, |v129|, v20                        // 000000007CE8: D1D30314 04530380
	v_max3_f32 v20, |v130|, |v131|, v20                        // 000000007CF0: D1D30314 04530782
	v_max3_f32 v21, |v132|, |v133|, v21                        // 000000007CF8: D1D30315 04570B84
	v_max3_f32 v21, |v134|, |v135|, v21                        // 000000007D00: D1D30315 04570F86
	v_max3_f32 v20, |v136|, |v137|, v20                        // 000000007D08: D1D30314 04531388
	v_max3_f32 v20, |v138|, |v139|, v20                        // 000000007D10: D1D30314 0453178A
	v_max3_f32 v21, |v140|, |v141|, v21                        // 000000007D18: D1D30315 04571B8C
	v_max3_f32 v21, |v142|, |v143|, v21                        // 000000007D20: D1D30315 04571F8E
	v_max3_f32 v20, |v144|, |v145|, v20                        // 000000007D28: D1D30314 04532390
	v_max3_f32 v20, |v146|, |v147|, v20                        // 000000007D30: D1D30314 04532792
	v_max3_f32 v21, |v148|, |v149|, v21                        // 000000007D38: D1D30315 04572B94
	v_max3_f32 v21, |v150|, |v151|, v21                        // 000000007D40: D1D30315 04572F96
	v_max3_f32 v20, |v152|, |v153|, v20                        // 000000007D48: D1D30314 04533398
	v_max3_f32 v20, |v154|, |v155|, v20                        // 000000007D50: D1D30314 0453379A
	v_max3_f32 v21, |v156|, |v157|, v21                        // 000000007D58: D1D30315 04573B9C
	v_max3_f32 v21, |v158|, |v159|, v21                        // 000000007D60: D1D30315 04573F9E
	v_lshlrev_b32_e32 v46, 3, v0                               // 000000007D68: 245C0083
	s_mul_i32 s60, 0x200, s7                                   // 000000007D6C: 923C07FF 00000200
	v_add_u32_e32 v46, s60, v46                                // 000000007D74: 685C5C3C
	ds_write_b64 v46, v[20:21] offset:16640                    // 000000007D78: D89A4100 0000142E
	s_waitcnt lgkmcnt(0)                                       // 000000007D80: BF8CC07F
	s_barrier                                                  // 000000007D84: BF8A0000
	v_and_b32_e32 v46, 15, v0                                  // 000000007D88: 265C008F
	v_lshlrev_b32_e32 v46, 3, v46                              // 000000007D8C: 245C5C83
	ds_read_b64 v[96:97], v46 offset:16640                     // 000000007D90: D8EC4100 6000002E
	ds_read_b64 v[98:99], v46 offset:16768                     // 000000007D98: D8EC4180 6200002E
	ds_read_b64 v[100:101], v46 offset:16896                   // 000000007DA0: D8EC4200 6400002E
	ds_read_b64 v[102:103], v46 offset:17024                   // 000000007DA8: D8EC4280 6600002E
	ds_read_b64 v[104:105], v46 offset:17152                   // 000000007DB0: D8EC4300 6800002E
	ds_read_b64 v[106:107], v46 offset:17280                   // 000000007DB8: D8EC4380 6A00002E
	ds_read_b64 v[108:109], v46 offset:17408                   // 000000007DC0: D8EC4400 6C00002E
	ds_read_b64 v[110:111], v46 offset:17536                   // 000000007DC8: D8EC4480 6E00002E
	ds_read_b64 v[112:113], v46 offset:17664                   // 000000007DD0: D8EC4500 7000002E
	ds_read_b64 v[114:115], v46 offset:17792                   // 000000007DD8: D8EC4580 7200002E
	ds_read_b64 v[116:117], v46 offset:17920                   // 000000007DE0: D8EC4600 7400002E
	ds_read_b64 v[118:119], v46 offset:18048                   // 000000007DE8: D8EC4680 7600002E
	ds_read_b64 v[120:121], v46 offset:18176                   // 000000007DF0: D8EC4700 7800002E
	ds_read_b64 v[122:123], v46 offset:18304                   // 000000007DF8: D8EC4780 7A00002E
	ds_read_b64 v[124:125], v46 offset:18432                   // 000000007E00: D8EC4800 7C00002E
	ds_read_b64 v[126:127], v46 offset:18560                   // 000000007E08: D8EC4880 7E00002E
	s_waitcnt lgkmcnt(0)                                       // 000000007E10: BF8CC07F
	v_max3_f32 v20, |v96|, |v98|, v20                          // 000000007E14: D1D30314 0452C560
	v_max3_f32 v21, |v97|, |v99|, v21                          // 000000007E1C: D1D30315 0456C761
	v_max3_f32 v20, |v100|, |v102|, v20                        // 000000007E24: D1D30314 0452CD64
	v_max3_f32 v21, |v101|, |v103|, v21                        // 000000007E2C: D1D30315 0456CF65
	v_max3_f32 v20, |v104|, |v106|, v20                        // 000000007E34: D1D30314 0452D568
	v_max3_f32 v21, |v105|, |v107|, v21                        // 000000007E3C: D1D30315 0456D769
	v_max3_f32 v20, |v108|, |v110|, v20                        // 000000007E44: D1D30314 0452DD6C
	v_max3_f32 v21, |v109|, |v111|, v21                        // 000000007E4C: D1D30315 0456DF6D
	v_max3_f32 v20, |v112|, |v114|, v20                        // 000000007E54: D1D30314 0452E570
	v_max3_f32 v21, |v113|, |v115|, v21                        // 000000007E5C: D1D30315 0456E771
	v_max3_f32 v20, |v116|, |v118|, v20                        // 000000007E64: D1D30314 0452ED74
	v_max3_f32 v21, |v117|, |v119|, v21                        // 000000007E6C: D1D30315 0456EF75
	v_max3_f32 v20, |v120|, |v122|, v20                        // 000000007E74: D1D30314 0452F578
	v_max3_f32 v21, |v121|, |v123|, v21                        // 000000007E7C: D1D30315 0456F779
	v_max3_f32 v20, |v124|, |v126|, v20                        // 000000007E84: D1D30314 0452FD7C
	v_max3_f32 v21, |v125|, |v127|, v21                        // 000000007E8C: D1D30315 0456FF7D
	v_rcp_f32_e32 v20, v20                                     // 000000007E94: 7E284514
	v_rcp_f32_e32 v21, v21                                     // 000000007E98: 7E2A4515
	v_mul_f32_e32 v20, 0x42fe0000, v20                         // 000000007E9C: 0A2828FF 42FE0000
	v_mul_f32_e32 v21, 0x42fe0000, v21                         // 000000007EA4: 0A2A2AFF 42FE0000
	v_mul_f32_e32 v128, v20, v128                              // 000000007EAC: 0B010114
	v_mul_f32_e32 v129, v20, v129                              // 000000007EB0: 0B030314
	v_mul_f32_e32 v130, v20, v130                              // 000000007EB4: 0B050514
	v_mul_f32_e32 v131, v20, v131                              // 000000007EB8: 0B070714
	v_cvt_i32_f32_e32 v128, v128                               // 000000007EBC: 7F001180
	v_cvt_i32_f32_e32 v129, v129                               // 000000007EC0: 7F021181
	v_cvt_i32_f32_e32 v130, v130                               // 000000007EC4: 7F041182
	v_cvt_i32_f32_e32 v131, v131                               // 000000007EC8: 7F061183
	v_perm_b32 v128, v129, v128, s53                           // 000000007ECC: D1ED0080 00D70181
	v_perm_b32 v128, v130, v128, s54                           // 000000007ED4: D1ED0080 00DB0182
	v_perm_b32 v128, v131, v128, s55                           // 000000007EDC: D1ED0080 00DF0183
	v_mul_f32_e32 v132, v21, v132                              // 000000007EE4: 0B090915
	v_mul_f32_e32 v133, v21, v133                              // 000000007EE8: 0B0B0B15
	v_mul_f32_e32 v134, v21, v134                              // 000000007EEC: 0B0D0D15
	v_mul_f32_e32 v135, v21, v135                              // 000000007EF0: 0B0F0F15
	v_cvt_i32_f32_e32 v132, v132                               // 000000007EF4: 7F081184
	v_cvt_i32_f32_e32 v133, v133                               // 000000007EF8: 7F0A1185
	v_cvt_i32_f32_e32 v134, v134                               // 000000007EFC: 7F0C1186
	v_cvt_i32_f32_e32 v135, v135                               // 000000007F00: 7F0E1187
	v_perm_b32 v129, v133, v132, s53                           // 000000007F04: D1ED0081 00D70985
	v_perm_b32 v129, v134, v129, s54                           // 000000007F0C: D1ED0081 00DB0386
	v_perm_b32 v129, v135, v129, s55                           // 000000007F14: D1ED0081 00DF0387
	v_mul_f32_e32 v136, v20, v136                              // 000000007F1C: 0B111114
	v_mul_f32_e32 v137, v20, v137                              // 000000007F20: 0B131314
	v_mul_f32_e32 v138, v20, v138                              // 000000007F24: 0B151514
	v_mul_f32_e32 v139, v20, v139                              // 000000007F28: 0B171714
	v_cvt_i32_f32_e32 v136, v136                               // 000000007F2C: 7F101188
	v_cvt_i32_f32_e32 v137, v137                               // 000000007F30: 7F121189
	v_cvt_i32_f32_e32 v138, v138                               // 000000007F34: 7F14118A
	v_cvt_i32_f32_e32 v139, v139                               // 000000007F38: 7F16118B
	v_perm_b32 v130, v137, v136, s53                           // 000000007F3C: D1ED0082 00D71189
	v_perm_b32 v130, v138, v130, s54                           // 000000007F44: D1ED0082 00DB058A
	v_perm_b32 v130, v139, v130, s55                           // 000000007F4C: D1ED0082 00DF058B
	v_mul_f32_e32 v140, v21, v140                              // 000000007F54: 0B191915
	v_mul_f32_e32 v141, v21, v141                              // 000000007F58: 0B1B1B15
	v_mul_f32_e32 v142, v21, v142                              // 000000007F5C: 0B1D1D15
	v_mul_f32_e32 v143, v21, v143                              // 000000007F60: 0B1F1F15
	v_cvt_i32_f32_e32 v140, v140                               // 000000007F64: 7F18118C
	v_cvt_i32_f32_e32 v141, v141                               // 000000007F68: 7F1A118D
	v_cvt_i32_f32_e32 v142, v142                               // 000000007F6C: 7F1C118E
	v_cvt_i32_f32_e32 v143, v143                               // 000000007F70: 7F1E118F
	v_perm_b32 v131, v141, v140, s53                           // 000000007F74: D1ED0083 00D7198D
	v_perm_b32 v131, v142, v131, s54                           // 000000007F7C: D1ED0083 00DB078E
	v_perm_b32 v131, v143, v131, s55                           // 000000007F84: D1ED0083 00DF078F
	v_mul_f32_e32 v144, v20, v144                              // 000000007F8C: 0B212114
	v_mul_f32_e32 v145, v20, v145                              // 000000007F90: 0B232314
	v_mul_f32_e32 v146, v20, v146                              // 000000007F94: 0B252514
	v_mul_f32_e32 v147, v20, v147                              // 000000007F98: 0B272714
	v_cvt_i32_f32_e32 v144, v144                               // 000000007F9C: 7F201190
	v_cvt_i32_f32_e32 v145, v145                               // 000000007FA0: 7F221191
	v_cvt_i32_f32_e32 v146, v146                               // 000000007FA4: 7F241192
	v_cvt_i32_f32_e32 v147, v147                               // 000000007FA8: 7F261193
	v_perm_b32 v132, v145, v144, s53                           // 000000007FAC: D1ED0084 00D72191
	v_perm_b32 v132, v146, v132, s54                           // 000000007FB4: D1ED0084 00DB0992
	v_perm_b32 v132, v147, v132, s55                           // 000000007FBC: D1ED0084 00DF0993
	v_mul_f32_e32 v148, v21, v148                              // 000000007FC4: 0B292915
	v_mul_f32_e32 v149, v21, v149                              // 000000007FC8: 0B2B2B15
	v_mul_f32_e32 v150, v21, v150                              // 000000007FCC: 0B2D2D15
	v_mul_f32_e32 v151, v21, v151                              // 000000007FD0: 0B2F2F15
	v_cvt_i32_f32_e32 v148, v148                               // 000000007FD4: 7F281194
	v_cvt_i32_f32_e32 v149, v149                               // 000000007FD8: 7F2A1195
	v_cvt_i32_f32_e32 v150, v150                               // 000000007FDC: 7F2C1196
	v_cvt_i32_f32_e32 v151, v151                               // 000000007FE0: 7F2E1197
	v_perm_b32 v133, v149, v148, s53                           // 000000007FE4: D1ED0085 00D72995
	v_perm_b32 v133, v150, v133, s54                           // 000000007FEC: D1ED0085 00DB0B96
	v_perm_b32 v133, v151, v133, s55                           // 000000007FF4: D1ED0085 00DF0B97
	v_mul_f32_e32 v152, v20, v152                              // 000000007FFC: 0B313114
	v_mul_f32_e32 v153, v20, v153                              // 000000008000: 0B333314
	v_mul_f32_e32 v154, v20, v154                              // 000000008004: 0B353514
	v_mul_f32_e32 v155, v20, v155                              // 000000008008: 0B373714
	v_cvt_i32_f32_e32 v152, v152                               // 00000000800C: 7F301198
	v_cvt_i32_f32_e32 v153, v153                               // 000000008010: 7F321199
	v_cvt_i32_f32_e32 v154, v154                               // 000000008014: 7F34119A
	v_cvt_i32_f32_e32 v155, v155                               // 000000008018: 7F36119B
	v_perm_b32 v134, v153, v152, s53                           // 00000000801C: D1ED0086 00D73199
	v_perm_b32 v134, v154, v134, s54                           // 000000008024: D1ED0086 00DB0D9A
	v_perm_b32 v134, v155, v134, s55                           // 00000000802C: D1ED0086 00DF0D9B
	v_mul_f32_e32 v156, v21, v156                              // 000000008034: 0B393915
	v_mul_f32_e32 v157, v21, v157                              // 000000008038: 0B3B3B15
	v_mul_f32_e32 v158, v21, v158                              // 00000000803C: 0B3D3D15
	v_mul_f32_e32 v159, v21, v159                              // 000000008040: 0B3F3F15
	v_cvt_i32_f32_e32 v156, v156                               // 000000008044: 7F38119C
	v_cvt_i32_f32_e32 v157, v157                               // 000000008048: 7F3A119D
	v_cvt_i32_f32_e32 v158, v158                               // 00000000804C: 7F3C119E
	v_cvt_i32_f32_e32 v159, v159                               // 000000008050: 7F3E119F
	v_perm_b32 v135, v157, v156, s53                           // 000000008054: D1ED0087 00D7399D
	v_perm_b32 v135, v158, v135, s54                           // 00000000805C: D1ED0087 00DB0F9E
	v_perm_b32 v135, v159, v135, s55                           // 000000008064: D1ED0087 00DF0F9F
	v_rcp_f32_e32 v22, v20                                     // 00000000806C: 7E2C4514
	v_rcp_f32_e32 v23, v21                                     // 000000008070: 7E2E4515
	v_lshrrev_b32_e32 v46, 5, v0                               // 000000008074: 205C0085
	v_lshlrev_b32_e32 v47, 5, v46                              // 000000008078: 245E5C85
	v_and_b32_e32 v46, 31, v0                                  // 00000000807C: 265C009F
	v_lshrrev_b32_e32 v48, 4, v46                              // 000000008080: 20605C84
	v_add_u32_e32 v47, v48, v47                                // 000000008084: 685E5F30
	v_and_b32_e32 v46, 15, v0                                  // 000000008088: 265C008F
	v_lshlrev_b32_e32 v46, 1, v46                              // 00000000808C: 245C5C81
	v_add_u32_e32 v47, v46, v47                                // 000000008090: 685E5F2E
	v_lshlrev_b32_e32 v46, 2, v47                              // 000000008094: 245C5E82
	s_mul_i32 s60, 0x100, s7                                   // 000000008098: 923C07FF 00000100
	v_add_u32_e64 v46, v46, s60                                // 0000000080A0: D134002E 0000792E
	ds_write_b32 v46, v128 offset:18688                        // 0000000080A8: D81A4900 0000802E
	ds_write_b32 v46, v129 offset:22784                        // 0000000080B0: D81A5900 0000812E
	ds_write_b32 v46, v130 offset:19712                        // 0000000080B8: D81A4D00 0000822E
	ds_write_b32 v46, v131 offset:23808                        // 0000000080C0: D81A5D00 0000832E
	ds_write_b32 v46, v132 offset:20736                        // 0000000080C8: D81A5100 0000842E
	ds_write_b32 v46, v133 offset:24832                        // 0000000080D0: D81A6100 0000852E
	ds_write_b32 v46, v134 offset:21760                        // 0000000080D8: D81A5500 0000862E
	ds_write_b32 v46, v135 offset:25856                        // 0000000080E0: D81A6500 0000872E
	s_waitcnt lgkmcnt(0)                                       // 0000000080E8: BF8CC07F
	s_barrier                                                  // 0000000080EC: BF8A0000
	v_lshrrev_b32_e32 v46, 4, v0                               // 0000000080F0: 205C0084
	v_lshlrev_b32_e32 v47, 6, v46                              // 0000000080F4: 245E5C86
	v_and_b32_e32 v46, 15, v0                                  // 0000000080F8: 265C008F
	v_lshlrev_b32_e32 v46, 1, v46                              // 0000000080FC: 245C5C81
	v_add_u32_e32 v47, v46, v47                                // 000000008100: 685E5F2E
	v_lshlrev_b32_e32 v46, 2, v47                              // 000000008104: 245C5E82
	ds_read_b64 v[128:129], v46 offset:18688                   // 000000008108: D8EC4900 8000002E
	ds_read_b64 v[130:131], v46 offset:18816                   // 000000008110: D8EC4980 8200002E
	ds_read_b64 v[132:133], v46 offset:19712                   // 000000008118: D8EC4D00 8400002E
	ds_read_b64 v[134:135], v46 offset:19840                   // 000000008120: D8EC4D80 8600002E
	ds_read_b64 v[136:137], v46 offset:20736                   // 000000008128: D8EC5100 8800002E
	ds_read_b64 v[138:139], v46 offset:20864                   // 000000008130: D8EC5180 8A00002E
	ds_read_b64 v[140:141], v46 offset:21760                   // 000000008138: D8EC5500 8C00002E
	ds_read_b64 v[142:143], v46 offset:21888                   // 000000008140: D8EC5580 8E00002E
	ds_read_b64 v[144:145], v46 offset:22784                   // 000000008148: D8EC5900 9000002E
	ds_read_b64 v[146:147], v46 offset:22912                   // 000000008150: D8EC5980 9200002E
	ds_read_b64 v[148:149], v46 offset:23808                   // 000000008158: D8EC5D00 9400002E
	ds_read_b64 v[150:151], v46 offset:23936                   // 000000008160: D8EC5D80 9600002E
	ds_read_b64 v[152:153], v46 offset:24832                   // 000000008168: D8EC6100 9800002E
	ds_read_b64 v[154:155], v46 offset:24960                   // 000000008170: D8EC6180 9A00002E
	ds_read_b64 v[156:157], v46 offset:25856                   // 000000008178: D8EC6500 9C00002E
	ds_read_b64 v[158:159], v46 offset:25984                   // 000000008180: D8EC6580 9E00002E
	s_add_u32 s12, s56, s12                                    // 000000008188: 800C0C38
	s_addc_u32 s13, 0, s13                                     // 00000000818C: 820D0D80
	s_add_u32 s16, s79, s16                                    // 000000008190: 8010104F
	s_addc_u32 s17, 0, s17                                     // 000000008194: 82111180
	s_mov_b32 s80, 0                                           // 000000008198: BED00080
	s_waitcnt vmcnt(0) expcnt(0) lgkmcnt(0)                    // 00000000819C: BF8C0000

00000000000081a0 <label_14E8>:
	s_waitcnt vmcnt(29)                                        // 0000000081A0: BF8C4F7D
	s_barrier                                                  // 0000000081A4: BF8A0000
	v_mfma_i32_16x16x32_i8 v[160:163], a[0:1], v[128:129], 0   // 0000000081A8: D3D700A0 0A030100
	buffer_load_dwordx4 a[64:67], v36, s[12:15], 0 offen       // 0000000081B0: E05C1000 80834024
	v_mfma_i32_16x16x32_i8 v[160:163], a[2:3], v[130:131], v[160:163]// 0000000081B8: D3D700A0 0E830502
	v_mfma_i32_16x16x32_i8 v[164:167], a[0:1], v[144:145], 0   // 0000000081C0: D3D700A4 0A032100
	v_mfma_i32_16x16x32_i8 v[164:167], a[2:3], v[146:147], v[164:167]// 0000000081C8: D3D700A4 0E932502
	v_mfma_i32_16x16x32_i8 v[168:171], a[4:5], v[128:129], 0   // 0000000081D0: D3D700A8 0A030104
	buffer_load_dwordx4 a[68:71], v37, s[12:15], 0 offen       // 0000000081D8: E05C1000 80834425
	v_mfma_i32_16x16x32_i8 v[168:171], a[6:7], v[130:131], v[168:171]// 0000000081E0: D3D700A8 0EA30506
	v_mfma_i32_16x16x32_i8 v[172:175], a[4:5], v[144:145], 0   // 0000000081E8: D3D700AC 0A032104
	v_mfma_i32_16x16x32_i8 v[172:175], a[6:7], v[146:147], v[172:175]// 0000000081F0: D3D700AC 0EB32506
	v_mfma_i32_16x16x32_i8 v[176:179], a[8:9], v[128:129], 0   // 0000000081F8: D3D700B0 0A030108
	buffer_load_dwordx4 a[72:75], v38, s[12:15], 0 offen       // 000000008200: E05C1000 80834826
	v_mfma_i32_16x16x32_i8 v[176:179], a[10:11], v[130:131], v[176:179]// 000000008208: D3D700B0 0EC3050A
	v_mfma_i32_16x16x32_i8 v[180:183], a[8:9], v[144:145], 0   // 000000008210: D3D700B4 0A032108
	v_mfma_i32_16x16x32_i8 v[180:183], a[10:11], v[146:147], v[180:183]// 000000008218: D3D700B4 0ED3250A
	v_mfma_i32_16x16x32_i8 v[184:187], a[12:13], v[128:129], 0 // 000000008220: D3D700B8 0A03010C
	buffer_load_dwordx4 a[76:79], v39, s[12:15], 0 offen       // 000000008228: E05C1000 80834C27
	s_add_u32 s12, s78, s12                                    // 000000008230: 800C0C4E
	s_addc_u32 s13, 0, s13                                     // 000000008234: 820D0D80
	v_mfma_i32_16x16x32_i8 v[184:187], a[14:15], v[130:131], v[184:187]// 000000008238: D3D700B8 0EE3050E
	v_mfma_i32_16x16x32_i8 v[188:191], a[12:13], v[144:145], 0 // 000000008240: D3D700BC 0A03210C
	v_mfma_i32_16x16x32_i8 v[188:191], a[14:15], v[146:147], v[188:191]// 000000008248: D3D700BC 0EF3250E
	s_waitcnt vmcnt(29)                                        // 000000008250: BF8C4F7D
	v_mfma_i32_16x16x32_i8 v[160:163], a[16:17], v[132:133], v[160:163]// 000000008254: D3D700A0 0E830910
	buffer_load_dwordx4 a[80:83], v36, s[12:15], 0 offen       // 00000000825C: E05C1000 80835024
	v_mfma_i32_16x16x32_i8 v[160:163], a[18:19], v[134:135], v[160:163]// 000000008264: D3D700A0 0E830D12
	v_mfma_i32_16x16x32_i8 v[164:167], a[16:17], v[148:149], v[164:167]// 00000000826C: D3D700A4 0E932910
	v_mfma_i32_16x16x32_i8 v[164:167], a[18:19], v[150:151], v[164:167]// 000000008274: D3D700A4 0E932D12
	v_mfma_i32_16x16x32_i8 v[168:171], a[20:21], v[132:133], v[168:171]// 00000000827C: D3D700A8 0EA30914
	buffer_load_dwordx4 a[84:87], v37, s[12:15], 0 offen       // 000000008284: E05C1000 80835425
	v_mfma_i32_16x16x32_i8 v[168:171], a[22:23], v[134:135], v[168:171]// 00000000828C: D3D700A8 0EA30D16
	v_mfma_i32_16x16x32_i8 v[172:175], a[20:21], v[148:149], v[172:175]// 000000008294: D3D700AC 0EB32914
	v_mfma_i32_16x16x32_i8 v[172:175], a[22:23], v[150:151], v[172:175]// 00000000829C: D3D700AC 0EB32D16
	v_mfma_i32_16x16x32_i8 v[176:179], a[24:25], v[132:133], v[176:179]// 0000000082A4: D3D700B0 0EC30918
	buffer_load_dwordx4 a[88:91], v38, s[12:15], 0 offen       // 0000000082AC: E05C1000 80835826
	v_mfma_i32_16x16x32_i8 v[176:179], a[26:27], v[134:135], v[176:179]// 0000000082B4: D3D700B0 0EC30D1A
	v_mfma_i32_16x16x32_i8 v[180:183], a[24:25], v[148:149], v[180:183]// 0000000082BC: D3D700B4 0ED32918
	v_mfma_i32_16x16x32_i8 v[180:183], a[26:27], v[150:151], v[180:183]// 0000000082C4: D3D700B4 0ED32D1A
	v_mfma_i32_16x16x32_i8 v[184:187], a[28:29], v[132:133], v[184:187]// 0000000082CC: D3D700B8 0EE3091C
	buffer_load_dwordx4 a[92:95], v39, s[12:15], 0 offen       // 0000000082D4: E05C1000 80835C27
	s_add_u32 s12, s78, s12                                    // 0000000082DC: 800C0C4E
	s_addc_u32 s13, 0, s13                                     // 0000000082E0: 820D0D80
	v_mfma_i32_16x16x32_i8 v[184:187], a[30:31], v[134:135], v[184:187]// 0000000082E4: D3D700B8 0EE30D1E
	v_mfma_i32_16x16x32_i8 v[188:191], a[28:29], v[148:149], v[188:191]// 0000000082EC: D3D700BC 0EF3291C
	v_mfma_i32_16x16x32_i8 v[188:191], a[30:31], v[150:151], v[188:191]// 0000000082F4: D3D700BC 0EF32D1E
	s_waitcnt vmcnt(29)                                        // 0000000082FC: BF8C4F7D
	v_mfma_i32_16x16x32_i8 v[160:163], a[32:33], v[136:137], v[160:163]// 000000008300: D3D700A0 0E831120
	buffer_load_dwordx4 a[96:99], v36, s[12:15], 0 offen       // 000000008308: E05C1000 80836024
	v_mfma_i32_16x16x32_i8 v[160:163], a[34:35], v[138:139], v[160:163]// 000000008310: D3D700A0 0E831522
	v_mfma_i32_16x16x32_i8 v[164:167], a[32:33], v[152:153], v[164:167]// 000000008318: D3D700A4 0E933120
	v_mfma_i32_16x16x32_i8 v[164:167], a[34:35], v[154:155], v[164:167]// 000000008320: D3D700A4 0E933522
	v_mfma_i32_16x16x32_i8 v[168:171], a[36:37], v[136:137], v[168:171]// 000000008328: D3D700A8 0EA31124
	buffer_load_dwordx4 a[100:103], v37, s[12:15], 0 offen     // 000000008330: E05C1000 80836425
	v_mfma_i32_16x16x32_i8 v[168:171], a[38:39], v[138:139], v[168:171]// 000000008338: D3D700A8 0EA31526
	v_mfma_i32_16x16x32_i8 v[172:175], a[36:37], v[152:153], v[172:175]// 000000008340: D3D700AC 0EB33124
	v_mfma_i32_16x16x32_i8 v[172:175], a[38:39], v[154:155], v[172:175]// 000000008348: D3D700AC 0EB33526
	v_mfma_i32_16x16x32_i8 v[176:179], a[40:41], v[136:137], v[176:179]// 000000008350: D3D700B0 0EC31128
	buffer_load_dwordx4 a[104:107], v38, s[12:15], 0 offen     // 000000008358: E05C1000 80836826
	v_mfma_i32_16x16x32_i8 v[176:179], a[42:43], v[138:139], v[176:179]// 000000008360: D3D700B0 0EC3152A
	v_mfma_i32_16x16x32_i8 v[180:183], a[40:41], v[152:153], v[180:183]// 000000008368: D3D700B4 0ED33128
	v_mfma_i32_16x16x32_i8 v[180:183], a[42:43], v[154:155], v[180:183]// 000000008370: D3D700B4 0ED3352A
	v_mfma_i32_16x16x32_i8 v[184:187], a[44:45], v[136:137], v[184:187]// 000000008378: D3D700B8 0EE3112C
	buffer_load_dwordx4 a[108:111], v39, s[12:15], 0 offen     // 000000008380: E05C1000 80836C27
	s_add_u32 s12, s78, s12                                    // 000000008388: 800C0C4E
	s_addc_u32 s13, 0, s13                                     // 00000000838C: 820D0D80
	v_mfma_i32_16x16x32_i8 v[184:187], a[46:47], v[138:139], v[184:187]// 000000008390: D3D700B8 0EE3152E
	v_mfma_i32_16x16x32_i8 v[188:191], a[44:45], v[152:153], v[188:191]// 000000008398: D3D700BC 0EF3312C
	v_mfma_i32_16x16x32_i8 v[188:191], a[46:47], v[154:155], v[188:191]// 0000000083A0: D3D700BC 0EF3352E
	s_waitcnt vmcnt(28)                                        // 0000000083A8: BF8C4F7C
	v_mfma_i32_16x16x32_i8 v[160:163], a[48:49], v[140:141], v[160:163]// 0000000083AC: D3D700A0 0E831930
	buffer_load_dwordx4 a[112:115], v36, s[12:15], 0 offen     // 0000000083B4: E05C1000 80837024
	v_mfma_i32_16x16x32_i8 v[160:163], a[50:51], v[142:143], v[160:163]// 0000000083BC: D3D700A0 0E831D32
	v_mfma_i32_16x16x32_i8 v[164:167], a[48:49], v[156:157], v[164:167]// 0000000083C4: D3D700A4 0E933930
	buffer_load_dword v12, v5, s[16:19], 0 offen               // 0000000083CC: E0501000 80040C05
	v_mfma_i32_16x16x32_i8 v[164:167], a[50:51], v[158:159], v[164:167]// 0000000083D4: D3D700A4 0E933D32
	v_mfma_i32_16x16x32_i8 v[168:171], a[52:53], v[140:141], v[168:171]// 0000000083DC: D3D700A8 0EA31934
	buffer_load_dwordx4 a[116:119], v37, s[12:15], 0 offen     // 0000000083E4: E05C1000 80837425
	v_mfma_i32_16x16x32_i8 v[168:171], a[54:55], v[142:143], v[168:171]// 0000000083EC: D3D700A8 0EA31D36
	v_mfma_i32_16x16x32_i8 v[172:175], a[52:53], v[156:157], v[172:175]// 0000000083F4: D3D700AC 0EB33934
	v_mfma_i32_16x16x32_i8 v[172:175], a[54:55], v[158:159], v[172:175]// 0000000083FC: D3D700AC 0EB33D36
	v_mfma_i32_16x16x32_i8 v[176:179], a[56:57], v[140:141], v[176:179]// 000000008404: D3D700B0 0EC31938
	buffer_load_dwordx4 a[120:123], v38, s[12:15], 0 offen     // 00000000840C: E05C1000 80837826
	v_mfma_i32_16x16x32_i8 v[176:179], a[58:59], v[142:143], v[176:179]// 000000008414: D3D700B0 0EC31D3A
	v_mfma_i32_16x16x32_i8 v[180:183], a[56:57], v[156:157], v[180:183]// 00000000841C: D3D700B4 0ED33938
	v_mfma_i32_16x16x32_i8 v[180:183], a[58:59], v[158:159], v[180:183]// 000000008424: D3D700B4 0ED33D3A
	v_mfma_i32_16x16x32_i8 v[184:187], a[60:61], v[140:141], v[184:187]// 00000000842C: D3D700B8 0EE3193C
	buffer_load_dwordx4 a[124:127], v39, s[12:15], 0 offen     // 000000008434: E05C1000 80837C27
	v_mfma_i32_16x16x32_i8 v[184:187], a[62:63], v[142:143], v[184:187]// 00000000843C: D3D700B8 0EE31D3E
	v_mfma_i32_16x16x32_i8 v[188:191], a[60:61], v[156:157], v[188:191]// 000000008444: D3D700BC 0EF3393C
	v_mfma_i32_16x16x32_i8 v[188:191], a[62:63], v[158:159], v[188:191]// 00000000844C: D3D700BC 0EF33D3E
	s_add_u32 s60, 0x200, s80                                  // 000000008454: 803C50FF 00000200
	s_cmp_lt_u32 s60, s81                                      // 00000000845C: BF0A513C
	s_cselect_b32 s56, s56, 0                                  // 000000008460: 85388038
	s_cselect_b32 s78, s78, 0                                  // 000000008464: 854E804E
	s_cselect_b32 s79, s79, 0                                  // 000000008468: 854F804F
	s_add_u32 s12, s56, s12                                    // 00000000846C: 800C0C38
	s_addc_u32 s13, 0, s13                                     // 000000008470: 820D0D80
	s_add_u32 s16, s79, s16                                    // 000000008474: 8010104F
	s_addc_u32 s17, 0, s17                                     // 000000008478: 82111180
	v_cvt_f32_i32_e32 v160, v160                               // 00000000847C: 7F400BA0
	v_cvt_f32_i32_e32 v161, v161                               // 000000008480: 7F420BA1
	v_cvt_f32_i32_e32 v162, v162                               // 000000008484: 7F440BA2
	v_cvt_f32_i32_e32 v163, v163                               // 000000008488: 7F460BA3
	v_mul_f32_e32 v160, v22, v160                              // 00000000848C: 0B414116
	v_mul_f32_e32 v161, v22, v161                              // 000000008490: 0B434316
	v_mul_f32_e32 v162, v22, v162                              // 000000008494: 0B454516
	v_mul_f32_e32 v163, v22, v163                              // 000000008498: 0B474716
	v_mul_f32_dpp v160, v11, v160 row_newbcast:0 row_mask:0xf bank_mask:0xf// 00000000849C: 0B4140FA FF01500B
	v_mul_f32_dpp v161, v11, v161 row_newbcast:1 row_mask:0xf bank_mask:0xf// 0000000084A4: 0B4342FA FF01510B
	v_mul_f32_dpp v162, v11, v162 row_newbcast:2 row_mask:0xf bank_mask:0xf// 0000000084AC: 0B4544FA FF01520B
	v_mul_f32_dpp v163, v11, v163 row_newbcast:3 row_mask:0xf bank_mask:0xf// 0000000084B4: 0B4746FA FF01530B
	v_mul_f32_e32 v160, v17, v160                              // 0000000084BC: 0B414111
	v_mul_f32_e32 v161, v17, v161                              // 0000000084C0: 0B434311
	v_mul_f32_e32 v162, v17, v162                              // 0000000084C4: 0B454511
	v_mul_f32_e32 v163, v17, v163                              // 0000000084C8: 0B474711
	v_cvt_f32_i32_e32 v164, v164                               // 0000000084CC: 7F480BA4
	v_cvt_f32_i32_e32 v165, v165                               // 0000000084D0: 7F4A0BA5
	v_cvt_f32_i32_e32 v166, v166                               // 0000000084D4: 7F4C0BA6
	v_cvt_f32_i32_e32 v167, v167                               // 0000000084D8: 7F4E0BA7
	v_mul_f32_e32 v164, v23, v164                              // 0000000084DC: 0B494917
	v_mul_f32_e32 v165, v23, v165                              // 0000000084E0: 0B4B4B17
	v_mul_f32_e32 v166, v23, v166                              // 0000000084E4: 0B4D4D17
	v_mul_f32_e32 v167, v23, v167                              // 0000000084E8: 0B4F4F17
	v_mul_f32_dpp v164, v11, v164 row_newbcast:0 row_mask:0xf bank_mask:0xf// 0000000084EC: 0B4948FA FF01500B
	v_mul_f32_dpp v165, v11, v165 row_newbcast:1 row_mask:0xf bank_mask:0xf// 0000000084F4: 0B4B4AFA FF01510B
	v_mul_f32_dpp v166, v11, v166 row_newbcast:2 row_mask:0xf bank_mask:0xf// 0000000084FC: 0B4D4CFA FF01520B
	v_mul_f32_dpp v167, v11, v167 row_newbcast:3 row_mask:0xf bank_mask:0xf// 000000008504: 0B4F4EFA FF01530B
	v_mul_f32_e32 v164, v18, v164                              // 00000000850C: 0B494912
	v_mul_f32_e32 v165, v18, v165                              // 000000008510: 0B4B4B12
	v_mul_f32_e32 v166, v18, v166                              // 000000008514: 0B4D4D12
	v_mul_f32_e32 v167, v18, v167                              // 000000008518: 0B4F4F12
	v_cvt_f32_i32_e32 v168, v168                               // 00000000851C: 7F500BA8
	v_cvt_f32_i32_e32 v169, v169                               // 000000008520: 7F520BA9
	v_cvt_f32_i32_e32 v170, v170                               // 000000008524: 7F540BAA
	v_cvt_f32_i32_e32 v171, v171                               // 000000008528: 7F560BAB
	v_mul_f32_e32 v168, v22, v168                              // 00000000852C: 0B515116
	v_mul_f32_e32 v169, v22, v169                              // 000000008530: 0B535316
	v_mul_f32_e32 v170, v22, v170                              // 000000008534: 0B555516
	v_mul_f32_e32 v171, v22, v171                              // 000000008538: 0B575716
	v_mul_f32_dpp v168, v11, v168 row_newbcast:4 row_mask:0xf bank_mask:0xf// 00000000853C: 0B5150FA FF01540B
	v_mul_f32_dpp v169, v11, v169 row_newbcast:5 row_mask:0xf bank_mask:0xf// 000000008544: 0B5352FA FF01550B
	v_mul_f32_dpp v170, v11, v170 row_newbcast:6 row_mask:0xf bank_mask:0xf// 00000000854C: 0B5554FA FF01560B
	v_mul_f32_dpp v171, v11, v171 row_newbcast:7 row_mask:0xf bank_mask:0xf// 000000008554: 0B5756FA FF01570B
	v_mul_f32_e32 v168, v17, v168                              // 00000000855C: 0B515111
	v_mul_f32_e32 v169, v17, v169                              // 000000008560: 0B535311
	v_mul_f32_e32 v170, v17, v170                              // 000000008564: 0B555511
	v_mul_f32_e32 v171, v17, v171                              // 000000008568: 0B575711
	v_cvt_f32_i32_e32 v172, v172                               // 00000000856C: 7F580BAC
	v_cvt_f32_i32_e32 v173, v173                               // 000000008570: 7F5A0BAD
	v_cvt_f32_i32_e32 v174, v174                               // 000000008574: 7F5C0BAE
	v_cvt_f32_i32_e32 v175, v175                               // 000000008578: 7F5E0BAF
	v_mul_f32_e32 v172, v23, v172                              // 00000000857C: 0B595917
	v_mul_f32_e32 v173, v23, v173                              // 000000008580: 0B5B5B17
	v_mul_f32_e32 v174, v23, v174                              // 000000008584: 0B5D5D17
	v_mul_f32_e32 v175, v23, v175                              // 000000008588: 0B5F5F17
	v_mul_f32_dpp v172, v11, v172 row_newbcast:4 row_mask:0xf bank_mask:0xf// 00000000858C: 0B5958FA FF01540B
	v_mul_f32_dpp v173, v11, v173 row_newbcast:5 row_mask:0xf bank_mask:0xf// 000000008594: 0B5B5AFA FF01550B
	v_mul_f32_dpp v174, v11, v174 row_newbcast:6 row_mask:0xf bank_mask:0xf// 00000000859C: 0B5D5CFA FF01560B
	v_mul_f32_dpp v175, v11, v175 row_newbcast:7 row_mask:0xf bank_mask:0xf// 0000000085A4: 0B5F5EFA FF01570B
	v_mul_f32_e32 v172, v18, v172                              // 0000000085AC: 0B595912
	v_mul_f32_e32 v173, v18, v173                              // 0000000085B0: 0B5B5B12
	v_mul_f32_e32 v174, v18, v174                              // 0000000085B4: 0B5D5D12
	v_mul_f32_e32 v175, v18, v175                              // 0000000085B8: 0B5F5F12
	v_cvt_f32_i32_e32 v176, v176                               // 0000000085BC: 7F600BB0
	v_cvt_f32_i32_e32 v177, v177                               // 0000000085C0: 7F620BB1
	v_cvt_f32_i32_e32 v178, v178                               // 0000000085C4: 7F640BB2
	v_cvt_f32_i32_e32 v179, v179                               // 0000000085C8: 7F660BB3
	v_mul_f32_e32 v176, v22, v176                              // 0000000085CC: 0B616116
	v_mul_f32_e32 v177, v22, v177                              // 0000000085D0: 0B636316
	v_mul_f32_e32 v178, v22, v178                              // 0000000085D4: 0B656516
	v_mul_f32_e32 v179, v22, v179                              // 0000000085D8: 0B676716
	v_mul_f32_dpp v176, v11, v176 row_newbcast:8 row_mask:0xf bank_mask:0xf// 0000000085DC: 0B6160FA FF01580B
	v_mul_f32_dpp v177, v11, v177 row_newbcast:9 row_mask:0xf bank_mask:0xf// 0000000085E4: 0B6362FA FF01590B
	v_mul_f32_dpp v178, v11, v178 row_newbcast:10 row_mask:0xf bank_mask:0xf// 0000000085EC: 0B6564FA FF015A0B
	v_mul_f32_dpp v179, v11, v179 row_newbcast:11 row_mask:0xf bank_mask:0xf// 0000000085F4: 0B6766FA FF015B0B
	v_mul_f32_e32 v176, v17, v176                              // 0000000085FC: 0B616111
	v_mul_f32_e32 v177, v17, v177                              // 000000008600: 0B636311
	v_mul_f32_e32 v178, v17, v178                              // 000000008604: 0B656511
	v_mul_f32_e32 v179, v17, v179                              // 000000008608: 0B676711
	v_cvt_f32_i32_e32 v180, v180                               // 00000000860C: 7F680BB4
	v_cvt_f32_i32_e32 v181, v181                               // 000000008610: 7F6A0BB5
	v_cvt_f32_i32_e32 v182, v182                               // 000000008614: 7F6C0BB6
	v_cvt_f32_i32_e32 v183, v183                               // 000000008618: 7F6E0BB7
	v_mul_f32_e32 v180, v23, v180                              // 00000000861C: 0B696917
	v_mul_f32_e32 v181, v23, v181                              // 000000008620: 0B6B6B17
	v_mul_f32_e32 v182, v23, v182                              // 000000008624: 0B6D6D17
	v_mul_f32_e32 v183, v23, v183                              // 000000008628: 0B6F6F17
	v_mul_f32_dpp v180, v11, v180 row_newbcast:8 row_mask:0xf bank_mask:0xf// 00000000862C: 0B6968FA FF01580B
	v_mul_f32_dpp v181, v11, v181 row_newbcast:9 row_mask:0xf bank_mask:0xf// 000000008634: 0B6B6AFA FF01590B
	v_mul_f32_dpp v182, v11, v182 row_newbcast:10 row_mask:0xf bank_mask:0xf// 00000000863C: 0B6D6CFA FF015A0B
	v_mul_f32_dpp v183, v11, v183 row_newbcast:11 row_mask:0xf bank_mask:0xf// 000000008644: 0B6F6EFA FF015B0B
	v_mul_f32_e32 v180, v18, v180                              // 00000000864C: 0B696912
	v_mul_f32_e32 v181, v18, v181                              // 000000008650: 0B6B6B12
	v_mul_f32_e32 v182, v18, v182                              // 000000008654: 0B6D6D12
	v_mul_f32_e32 v183, v18, v183                              // 000000008658: 0B6F6F12
	v_cvt_f32_i32_e32 v184, v184                               // 00000000865C: 7F700BB8
	v_cvt_f32_i32_e32 v185, v185                               // 000000008660: 7F720BB9
	v_cvt_f32_i32_e32 v186, v186                               // 000000008664: 7F740BBA
	v_cvt_f32_i32_e32 v187, v187                               // 000000008668: 7F760BBB
	v_mul_f32_e32 v184, v22, v184                              // 00000000866C: 0B717116
	v_mul_f32_e32 v185, v22, v185                              // 000000008670: 0B737316
	v_mul_f32_e32 v186, v22, v186                              // 000000008674: 0B757516
	v_mul_f32_e32 v187, v22, v187                              // 000000008678: 0B777716
	v_mul_f32_dpp v184, v11, v184 row_newbcast:12 row_mask:0xf bank_mask:0xf// 00000000867C: 0B7170FA FF015C0B
	v_mul_f32_dpp v185, v11, v185 row_newbcast:13 row_mask:0xf bank_mask:0xf// 000000008684: 0B7372FA FF015D0B
	v_mul_f32_dpp v186, v11, v186 row_newbcast:14 row_mask:0xf bank_mask:0xf// 00000000868C: 0B7574FA FF015E0B
	v_mul_f32_dpp v187, v11, v187 row_newbcast:15 row_mask:0xf bank_mask:0xf// 000000008694: 0B7776FA FF015F0B
	v_mul_f32_e32 v184, v17, v184                              // 00000000869C: 0B717111
	v_mul_f32_e32 v185, v17, v185                              // 0000000086A0: 0B737311
	v_mul_f32_e32 v186, v17, v186                              // 0000000086A4: 0B757511
	v_mul_f32_e32 v187, v17, v187                              // 0000000086A8: 0B777711
	v_cvt_f32_i32_e32 v188, v188                               // 0000000086AC: 7F780BBC
	v_cvt_f32_i32_e32 v189, v189                               // 0000000086B0: 7F7A0BBD
	v_cvt_f32_i32_e32 v190, v190                               // 0000000086B4: 7F7C0BBE
	v_cvt_f32_i32_e32 v191, v191                               // 0000000086B8: 7F7E0BBF
	v_mul_f32_e32 v188, v23, v188                              // 0000000086BC: 0B797917
	v_mul_f32_e32 v189, v23, v189                              // 0000000086C0: 0B7B7B17
	v_mul_f32_e32 v190, v23, v190                              // 0000000086C4: 0B7D7D17
	v_mul_f32_e32 v191, v23, v191                              // 0000000086C8: 0B7F7F17
	v_mul_f32_dpp v188, v11, v188 row_newbcast:12 row_mask:0xf bank_mask:0xf// 0000000086CC: 0B7978FA FF015C0B
	v_mul_f32_dpp v189, v11, v189 row_newbcast:13 row_mask:0xf bank_mask:0xf// 0000000086D4: 0B7B7AFA FF015D0B
	v_mul_f32_dpp v190, v11, v190 row_newbcast:14 row_mask:0xf bank_mask:0xf// 0000000086DC: 0B7D7CFA FF015E0B
	v_mul_f32_dpp v191, v11, v191 row_newbcast:15 row_mask:0xf bank_mask:0xf// 0000000086E4: 0B7F7EFA FF015F0B
	v_mul_f32_e32 v188, v18, v188                              // 0000000086EC: 0B797912
	v_mul_f32_e32 v189, v18, v189                              // 0000000086F0: 0B7B7B12
	v_mul_f32_e32 v190, v18, v190                              // 0000000086F4: 0B7D7D12
	v_mul_f32_e32 v191, v18, v191                              // 0000000086F8: 0B7F7F12
	v_cmp_u_f32_e64 s[48:49], v160, v160                       // 0000000086FC: D0480030 000341A0
	v_add3_u32 v40, v160, v43, 1                               // 000000008704: D1FF0028 020657A0
	v_cndmask_b32_e64 v46, v40, v42, s[48:49]                  // 00000000870C: D100002E 00C25528
	v_cmp_u_f32_e64 s[48:49], v161, v161                       // 000000008714: D0480030 000343A1
	v_add3_u32 v40, v161, v43, 1                               // 00000000871C: D1FF0028 020657A1
	v_cndmask_b32_e64 v47, v40, v42, s[48:49]                  // 000000008724: D100002F 00C25528
	v_perm_b32 v160, v47, v46, s52                             // 00000000872C: D1ED00A0 00D25D2F
	v_cmp_u_f32_e64 s[48:49], v162, v162                       // 000000008734: D0480030 000345A2
	v_add3_u32 v40, v162, v43, 1                               // 00000000873C: D1FF0028 020657A2
	v_cndmask_b32_e64 v46, v40, v42, s[48:49]                  // 000000008744: D100002E 00C25528
	v_cmp_u_f32_e64 s[48:49], v163, v163                       // 00000000874C: D0480030 000347A3
	v_add3_u32 v40, v163, v43, 1                               // 000000008754: D1FF0028 020657A3
	v_cndmask_b32_e64 v47, v40, v42, s[48:49]                  // 00000000875C: D100002F 00C25528
	v_perm_b32 v161, v47, v46, s52                             // 000000008764: D1ED00A1 00D25D2F
	v_cmp_u_f32_e64 s[48:49], v164, v164                       // 00000000876C: D0480030 000349A4
	v_add3_u32 v40, v164, v43, 1                               // 000000008774: D1FF0028 020657A4
	v_cndmask_b32_e64 v46, v40, v42, s[48:49]                  // 00000000877C: D100002E 00C25528
	v_cmp_u_f32_e64 s[48:49], v165, v165                       // 000000008784: D0480030 00034BA5
	v_add3_u32 v40, v165, v43, 1                               // 00000000878C: D1FF0028 020657A5
	v_cndmask_b32_e64 v47, v40, v42, s[48:49]                  // 000000008794: D100002F 00C25528
	v_perm_b32 v162, v47, v46, s52                             // 00000000879C: D1ED00A2 00D25D2F
	v_cmp_u_f32_e64 s[48:49], v166, v166                       // 0000000087A4: D0480030 00034DA6
	v_add3_u32 v40, v166, v43, 1                               // 0000000087AC: D1FF0028 020657A6
	v_cndmask_b32_e64 v46, v40, v42, s[48:49]                  // 0000000087B4: D100002E 00C25528
	v_cmp_u_f32_e64 s[48:49], v167, v167                       // 0000000087BC: D0480030 00034FA7
	v_add3_u32 v40, v167, v43, 1                               // 0000000087C4: D1FF0028 020657A7
	v_cndmask_b32_e64 v47, v40, v42, s[48:49]                  // 0000000087CC: D100002F 00C25528
	v_perm_b32 v163, v47, v46, s52                             // 0000000087D4: D1ED00A3 00D25D2F
	v_cmp_u_f32_e64 s[48:49], v168, v168                       // 0000000087DC: D0480030 000351A8
	v_add3_u32 v40, v168, v43, 1                               // 0000000087E4: D1FF0028 020657A8
	v_cndmask_b32_e64 v46, v40, v42, s[48:49]                  // 0000000087EC: D100002E 00C25528
	v_cmp_u_f32_e64 s[48:49], v169, v169                       // 0000000087F4: D0480030 000353A9
	v_add3_u32 v40, v169, v43, 1                               // 0000000087FC: D1FF0028 020657A9
	v_cndmask_b32_e64 v47, v40, v42, s[48:49]                  // 000000008804: D100002F 00C25528
	v_perm_b32 v164, v47, v46, s52                             // 00000000880C: D1ED00A4 00D25D2F
	v_cmp_u_f32_e64 s[48:49], v170, v170                       // 000000008814: D0480030 000355AA
	v_add3_u32 v40, v170, v43, 1                               // 00000000881C: D1FF0028 020657AA
	v_cndmask_b32_e64 v46, v40, v42, s[48:49]                  // 000000008824: D100002E 00C25528
	v_cmp_u_f32_e64 s[48:49], v171, v171                       // 00000000882C: D0480030 000357AB
	v_add3_u32 v40, v171, v43, 1                               // 000000008834: D1FF0028 020657AB
	v_cndmask_b32_e64 v47, v40, v42, s[48:49]                  // 00000000883C: D100002F 00C25528
	v_perm_b32 v165, v47, v46, s52                             // 000000008844: D1ED00A5 00D25D2F
	v_cmp_u_f32_e64 s[48:49], v172, v172                       // 00000000884C: D0480030 000359AC
	v_add3_u32 v40, v172, v43, 1                               // 000000008854: D1FF0028 020657AC
	v_cndmask_b32_e64 v46, v40, v42, s[48:49]                  // 00000000885C: D100002E 00C25528
	v_cmp_u_f32_e64 s[48:49], v173, v173                       // 000000008864: D0480030 00035BAD
	v_add3_u32 v40, v173, v43, 1                               // 00000000886C: D1FF0028 020657AD
	v_cndmask_b32_e64 v47, v40, v42, s[48:49]                  // 000000008874: D100002F 00C25528
	v_perm_b32 v166, v47, v46, s52                             // 00000000887C: D1ED00A6 00D25D2F
	v_cmp_u_f32_e64 s[48:49], v174, v174                       // 000000008884: D0480030 00035DAE
	v_add3_u32 v40, v174, v43, 1                               // 00000000888C: D1FF0028 020657AE
	v_cndmask_b32_e64 v46, v40, v42, s[48:49]                  // 000000008894: D100002E 00C25528
	v_cmp_u_f32_e64 s[48:49], v175, v175                       // 00000000889C: D0480030 00035FAF
	v_add3_u32 v40, v175, v43, 1                               // 0000000088A4: D1FF0028 020657AF
	v_cndmask_b32_e64 v47, v40, v42, s[48:49]                  // 0000000088AC: D100002F 00C25528
	v_perm_b32 v167, v47, v46, s52                             // 0000000088B4: D1ED00A7 00D25D2F
	v_cmp_u_f32_e64 s[48:49], v176, v176                       // 0000000088BC: D0480030 000361B0
	v_add3_u32 v40, v176, v43, 1                               // 0000000088C4: D1FF0028 020657B0
	v_cndmask_b32_e64 v46, v40, v42, s[48:49]                  // 0000000088CC: D100002E 00C25528
	v_cmp_u_f32_e64 s[48:49], v177, v177                       // 0000000088D4: D0480030 000363B1
	v_add3_u32 v40, v177, v43, 1                               // 0000000088DC: D1FF0028 020657B1
	v_cndmask_b32_e64 v47, v40, v42, s[48:49]                  // 0000000088E4: D100002F 00C25528
	v_perm_b32 v168, v47, v46, s52                             // 0000000088EC: D1ED00A8 00D25D2F
	v_cmp_u_f32_e64 s[48:49], v178, v178                       // 0000000088F4: D0480030 000365B2
	v_add3_u32 v40, v178, v43, 1                               // 0000000088FC: D1FF0028 020657B2
	v_cndmask_b32_e64 v46, v40, v42, s[48:49]                  // 000000008904: D100002E 00C25528
	v_cmp_u_f32_e64 s[48:49], v179, v179                       // 00000000890C: D0480030 000367B3
	v_add3_u32 v40, v179, v43, 1                               // 000000008914: D1FF0028 020657B3
	v_cndmask_b32_e64 v47, v40, v42, s[48:49]                  // 00000000891C: D100002F 00C25528
	v_perm_b32 v169, v47, v46, s52                             // 000000008924: D1ED00A9 00D25D2F
	v_cmp_u_f32_e64 s[48:49], v180, v180                       // 00000000892C: D0480030 000369B4
	v_add3_u32 v40, v180, v43, 1                               // 000000008934: D1FF0028 020657B4
	v_cndmask_b32_e64 v46, v40, v42, s[48:49]                  // 00000000893C: D100002E 00C25528
	v_cmp_u_f32_e64 s[48:49], v181, v181                       // 000000008944: D0480030 00036BB5
	v_add3_u32 v40, v181, v43, 1                               // 00000000894C: D1FF0028 020657B5
	v_cndmask_b32_e64 v47, v40, v42, s[48:49]                  // 000000008954: D100002F 00C25528
	v_perm_b32 v170, v47, v46, s52                             // 00000000895C: D1ED00AA 00D25D2F
	v_cmp_u_f32_e64 s[48:49], v182, v182                       // 000000008964: D0480030 00036DB6
	v_add3_u32 v40, v182, v43, 1                               // 00000000896C: D1FF0028 020657B6
	v_cndmask_b32_e64 v46, v40, v42, s[48:49]                  // 000000008974: D100002E 00C25528
	v_cmp_u_f32_e64 s[48:49], v183, v183                       // 00000000897C: D0480030 00036FB7
	v_add3_u32 v40, v183, v43, 1                               // 000000008984: D1FF0028 020657B7
	v_cndmask_b32_e64 v47, v40, v42, s[48:49]                  // 00000000898C: D100002F 00C25528
	v_perm_b32 v171, v47, v46, s52                             // 000000008994: D1ED00AB 00D25D2F
	v_cmp_u_f32_e64 s[48:49], v184, v184                       // 00000000899C: D0480030 000371B8
	v_add3_u32 v40, v184, v43, 1                               // 0000000089A4: D1FF0028 020657B8
	v_cndmask_b32_e64 v46, v40, v42, s[48:49]                  // 0000000089AC: D100002E 00C25528
	v_cmp_u_f32_e64 s[48:49], v185, v185                       // 0000000089B4: D0480030 000373B9
	v_add3_u32 v40, v185, v43, 1                               // 0000000089BC: D1FF0028 020657B9
	v_cndmask_b32_e64 v47, v40, v42, s[48:49]                  // 0000000089C4: D100002F 00C25528
	v_perm_b32 v172, v47, v46, s52                             // 0000000089CC: D1ED00AC 00D25D2F
	v_cmp_u_f32_e64 s[48:49], v186, v186                       // 0000000089D4: D0480030 000375BA
	v_add3_u32 v40, v186, v43, 1                               // 0000000089DC: D1FF0028 020657BA
	v_cndmask_b32_e64 v46, v40, v42, s[48:49]                  // 0000000089E4: D100002E 00C25528
	v_cmp_u_f32_e64 s[48:49], v187, v187                       // 0000000089EC: D0480030 000377BB
	v_add3_u32 v40, v187, v43, 1                               // 0000000089F4: D1FF0028 020657BB
	v_cndmask_b32_e64 v47, v40, v42, s[48:49]                  // 0000000089FC: D100002F 00C25528
	v_perm_b32 v173, v47, v46, s52                             // 000000008A04: D1ED00AD 00D25D2F
	v_cmp_u_f32_e64 s[48:49], v188, v188                       // 000000008A0C: D0480030 000379BC
	v_add3_u32 v40, v188, v43, 1                               // 000000008A14: D1FF0028 020657BC
	v_cndmask_b32_e64 v46, v40, v42, s[48:49]                  // 000000008A1C: D100002E 00C25528
	v_cmp_u_f32_e64 s[48:49], v189, v189                       // 000000008A24: D0480030 00037BBD
	v_add3_u32 v40, v189, v43, 1                               // 000000008A2C: D1FF0028 020657BD
	v_cndmask_b32_e64 v47, v40, v42, s[48:49]                  // 000000008A34: D100002F 00C25528
	v_perm_b32 v174, v47, v46, s52                             // 000000008A3C: D1ED00AE 00D25D2F
	v_cmp_u_f32_e64 s[48:49], v190, v190                       // 000000008A44: D0480030 00037DBE
	v_add3_u32 v40, v190, v43, 1                               // 000000008A4C: D1FF0028 020657BE
	v_cndmask_b32_e64 v46, v40, v42, s[48:49]                  // 000000008A54: D100002E 00C25528
	v_cmp_u_f32_e64 s[48:49], v191, v191                       // 000000008A5C: D0480030 00037FBF
	v_add3_u32 v40, v191, v43, 1                               // 000000008A64: D1FF0028 020657BF
	v_cndmask_b32_e64 v47, v40, v42, s[48:49]                  // 000000008A6C: D100002F 00C25528
	v_perm_b32 v175, v47, v46, s52                             // 000000008A74: D1ED00AF 00D25D2F
	ds_write_b64 v3, v[160:161] offset:26880                   // 000000008A7C: D89A6900 0000A003
	ds_write_b64 v3, v[162:163] offset:35584                   // 000000008A84: D89A8B00 0000A203
	ds_write_b64 v3, v[164:165] offset:29056                   // 000000008A8C: D89A7180 0000A403
	ds_write_b64 v3, v[166:167] offset:37760                   // 000000008A94: D89A9380 0000A603
	ds_write_b64 v3, v[168:169] offset:31232                   // 000000008A9C: D89A7A00 0000A803
	ds_write_b64 v3, v[170:171] offset:39936                   // 000000008AA4: D89A9C00 0000AA03
	ds_write_b64 v3, v[172:173] offset:33408                   // 000000008AAC: D89A8280 0000AC03
	ds_write_b64 v3, v[174:175] offset:42112                   // 000000008AB4: D89AA480 0000AE03
	s_waitcnt lgkmcnt(0)                                       // 000000008ABC: BF8CC07F
	s_barrier                                                  // 000000008AC0: BF8A0000
	ds_read_b32 v64, v4 offset:26880                           // 000000008AC4: D86C6900 40000004
	ds_read_b32 v65, v4 offset:31232                           // 000000008ACC: D86C7A00 41000004
	ds_read_b32 v66, v4 offset:26912                           // 000000008AD4: D86C6920 42000004
	ds_read_b32 v67, v4 offset:31264                           // 000000008ADC: D86C7A20 43000004
	ds_read_b32 v68, v4 offset:26944                           // 000000008AE4: D86C6940 44000004
	ds_read_b32 v69, v4 offset:31296                           // 000000008AEC: D86C7A40 45000004
	ds_read_b32 v70, v4 offset:26976                           // 000000008AF4: D86C6960 46000004
	ds_read_b32 v71, v4 offset:31328                           // 000000008AFC: D86C7A60 47000004
	ds_read_b32 v72, v4 offset:35584                           // 000000008B04: D86C8B00 48000004
	ds_read_b32 v73, v4 offset:39936                           // 000000008B0C: D86C9C00 49000004
	ds_read_b32 v74, v4 offset:35616                           // 000000008B14: D86C8B20 4A000004
	ds_read_b32 v75, v4 offset:39968                           // 000000008B1C: D86C9C20 4B000004
	ds_read_b32 v76, v4 offset:35648                           // 000000008B24: D86C8B40 4C000004
	ds_read_b32 v77, v4 offset:40000                           // 000000008B2C: D86C9C40 4D000004
	ds_read_b32 v78, v4 offset:35680                           // 000000008B34: D86C8B60 4E000004
	ds_read_b32 v79, v4 offset:40032                           // 000000008B3C: D86C9C60 4F000004
	s_waitcnt lgkmcnt(0)                                       // 000000008B44: BF8CC07F
	s_mov_b64 exec, s[20:21]                                   // 000000008B48: BEFE0114
	global_atomic_pk_add_bf16 v80, v64, s[8:9]                 // 000000008B4C: DD488000 00084050
	s_mov_b64 exec, s[36:37]                                   // 000000008B54: BEFE0124
	s_mov_b64 exec, s[20:21]                                   // 000000008B58: BEFE0114
	global_atomic_pk_add_bf16 v80, v65, s[8:9] offset:256      // 000000008B5C: DD488100 00084150
	s_mov_b64 exec, s[36:37]                                   // 000000008B64: BEFE0124
	s_mov_b64 exec, s[22:23]                                   // 000000008B68: BEFE0116
	global_atomic_pk_add_bf16 v82, v66, s[8:9]                 // 000000008B6C: DD488000 00084252
	s_mov_b64 exec, s[36:37]                                   // 000000008B74: BEFE0124
	s_mov_b64 exec, s[22:23]                                   // 000000008B78: BEFE0116
	global_atomic_pk_add_bf16 v82, v67, s[8:9] offset:256      // 000000008B7C: DD488100 00084352
	s_mov_b64 exec, s[36:37]                                   // 000000008B84: BEFE0124
	s_mov_b64 exec, s[24:25]                                   // 000000008B88: BEFE0118
	global_atomic_pk_add_bf16 v84, v68, s[8:9]                 // 000000008B8C: DD488000 00084454
	s_mov_b64 exec, s[36:37]                                   // 000000008B94: BEFE0124
	s_mov_b64 exec, s[24:25]                                   // 000000008B98: BEFE0118
	global_atomic_pk_add_bf16 v84, v69, s[8:9] offset:256      // 000000008B9C: DD488100 00084554
	s_mov_b64 exec, s[36:37]                                   // 000000008BA4: BEFE0124
	s_mov_b64 exec, s[26:27]                                   // 000000008BA8: BEFE011A
	global_atomic_pk_add_bf16 v86, v70, s[8:9]                 // 000000008BAC: DD488000 00084656
	s_mov_b64 exec, s[36:37]                                   // 000000008BB4: BEFE0124
	s_mov_b64 exec, s[26:27]                                   // 000000008BB8: BEFE011A
	global_atomic_pk_add_bf16 v86, v71, s[8:9] offset:256      // 000000008BBC: DD488100 00084756
	s_mov_b64 exec, s[36:37]                                   // 000000008BC4: BEFE0124
	s_mov_b64 exec, s[28:29]                                   // 000000008BC8: BEFE011C
	global_atomic_pk_add_bf16 v88, v72, s[8:9]                 // 000000008BCC: DD488000 00084858
	s_mov_b64 exec, s[36:37]                                   // 000000008BD4: BEFE0124
	s_mov_b64 exec, s[28:29]                                   // 000000008BD8: BEFE011C
	global_atomic_pk_add_bf16 v88, v73, s[8:9] offset:256      // 000000008BDC: DD488100 00084958
	s_mov_b64 exec, s[36:37]                                   // 000000008BE4: BEFE0124
	s_mov_b64 exec, s[30:31]                                   // 000000008BE8: BEFE011E
	global_atomic_pk_add_bf16 v90, v74, s[8:9]                 // 000000008BEC: DD488000 00084A5A
	s_mov_b64 exec, s[36:37]                                   // 000000008BF4: BEFE0124
	s_mov_b64 exec, s[30:31]                                   // 000000008BF8: BEFE011E
	global_atomic_pk_add_bf16 v90, v75, s[8:9] offset:256      // 000000008BFC: DD488100 00084B5A
	s_mov_b64 exec, s[36:37]                                   // 000000008C04: BEFE0124
	s_mov_b64 exec, s[32:33]                                   // 000000008C08: BEFE0120
	global_atomic_pk_add_bf16 v92, v76, s[8:9]                 // 000000008C0C: DD488000 00084C5C
	s_mov_b64 exec, s[36:37]                                   // 000000008C14: BEFE0124
	s_mov_b64 exec, s[32:33]                                   // 000000008C18: BEFE0120
	global_atomic_pk_add_bf16 v92, v77, s[8:9] offset:256      // 000000008C1C: DD488100 00084D5C
	s_mov_b64 exec, s[36:37]                                   // 000000008C24: BEFE0124
	s_mov_b64 exec, s[34:35]                                   // 000000008C28: BEFE0122
	global_atomic_pk_add_bf16 v94, v78, s[8:9]                 // 000000008C2C: DD488000 00084E5E
	s_mov_b64 exec, s[36:37]                                   // 000000008C34: BEFE0124
	s_mov_b64 exec, s[34:35]                                   // 000000008C38: BEFE0122
	global_atomic_pk_add_bf16 v94, v79, s[8:9] offset:256      // 000000008C3C: DD488100 00084F5E
	s_mov_b64 exec, s[36:37]                                   // 000000008C44: BEFE0124
	s_add_u32 s8, s59, s8                                      // 000000008C48: 8008083B
	s_addc_u32 s9, 0, s9                                       // 000000008C4C: 82090980
	s_addk_i32 s80, 0x100                                      // 000000008C50: B7500100
	s_cmp_lt_i32 s80, s81                                      // 000000008C54: BF045150
	s_cbranch_scc0 label_0E42                                  // 000000008C58: BF84F6AB
	s_waitcnt vmcnt(29)                                        // 000000008C5C: BF8C4F7D
	s_barrier                                                  // 000000008C60: BF8A0000
	v_mfma_i32_16x16x32_i8 v[192:195], a[64:65], v[128:129], 0 // 000000008C64: D3D700C0 0A030140
	buffer_load_dwordx4 a[0:3], v36, s[12:15], 0 offen         // 000000008C6C: E05C1000 80830024
	v_mfma_i32_16x16x32_i8 v[192:195], a[66:67], v[130:131], v[192:195]// 000000008C74: D3D700C0 0F030542
	v_mfma_i32_16x16x32_i8 v[196:199], a[64:65], v[144:145], 0 // 000000008C7C: D3D700C4 0A032140
	v_mfma_i32_16x16x32_i8 v[196:199], a[66:67], v[146:147], v[196:199]// 000000008C84: D3D700C4 0F132542
	v_mfma_i32_16x16x32_i8 v[200:203], a[68:69], v[128:129], 0 // 000000008C8C: D3D700C8 0A030144
	buffer_load_dwordx4 a[4:7], v37, s[12:15], 0 offen         // 000000008C94: E05C1000 80830425
	v_mfma_i32_16x16x32_i8 v[200:203], a[70:71], v[130:131], v[200:203]// 000000008C9C: D3D700C8 0F230546
	v_mfma_i32_16x16x32_i8 v[204:207], a[68:69], v[144:145], 0 // 000000008CA4: D3D700CC 0A032144
	v_mfma_i32_16x16x32_i8 v[204:207], a[70:71], v[146:147], v[204:207]// 000000008CAC: D3D700CC 0F332546
	v_mfma_i32_16x16x32_i8 v[208:211], a[72:73], v[128:129], 0 // 000000008CB4: D3D700D0 0A030148
	buffer_load_dwordx4 a[8:11], v38, s[12:15], 0 offen        // 000000008CBC: E05C1000 80830826
	v_mfma_i32_16x16x32_i8 v[208:211], a[74:75], v[130:131], v[208:211]// 000000008CC4: D3D700D0 0F43054A
	v_mfma_i32_16x16x32_i8 v[212:215], a[72:73], v[144:145], 0 // 000000008CCC: D3D700D4 0A032148
	v_mfma_i32_16x16x32_i8 v[212:215], a[74:75], v[146:147], v[212:215]// 000000008CD4: D3D700D4 0F53254A
	v_mfma_i32_16x16x32_i8 v[216:219], a[76:77], v[128:129], 0 // 000000008CDC: D3D700D8 0A03014C
	buffer_load_dwordx4 a[12:15], v39, s[12:15], 0 offen       // 000000008CE4: E05C1000 80830C27
	s_add_u32 s12, s78, s12                                    // 000000008CEC: 800C0C4E
	s_addc_u32 s13, 0, s13                                     // 000000008CF0: 820D0D80
	v_mfma_i32_16x16x32_i8 v[216:219], a[78:79], v[130:131], v[216:219]// 000000008CF4: D3D700D8 0F63054E
	v_mfma_i32_16x16x32_i8 v[220:223], a[76:77], v[144:145], 0 // 000000008CFC: D3D700DC 0A03214C
	v_mfma_i32_16x16x32_i8 v[220:223], a[78:79], v[146:147], v[220:223]// 000000008D04: D3D700DC 0F73254E
	s_waitcnt vmcnt(29)                                        // 000000008D0C: BF8C4F7D
	v_mfma_i32_16x16x32_i8 v[192:195], a[80:81], v[132:133], v[192:195]// 000000008D10: D3D700C0 0F030950
	buffer_load_dwordx4 a[16:19], v36, s[12:15], 0 offen       // 000000008D18: E05C1000 80831024
	v_mfma_i32_16x16x32_i8 v[192:195], a[82:83], v[134:135], v[192:195]// 000000008D20: D3D700C0 0F030D52
	v_mfma_i32_16x16x32_i8 v[196:199], a[80:81], v[148:149], v[196:199]// 000000008D28: D3D700C4 0F132950
	v_mfma_i32_16x16x32_i8 v[196:199], a[82:83], v[150:151], v[196:199]// 000000008D30: D3D700C4 0F132D52
	v_mfma_i32_16x16x32_i8 v[200:203], a[84:85], v[132:133], v[200:203]// 000000008D38: D3D700C8 0F230954
	buffer_load_dwordx4 a[20:23], v37, s[12:15], 0 offen       // 000000008D40: E05C1000 80831425
	v_mfma_i32_16x16x32_i8 v[200:203], a[86:87], v[134:135], v[200:203]// 000000008D48: D3D700C8 0F230D56
	v_mfma_i32_16x16x32_i8 v[204:207], a[84:85], v[148:149], v[204:207]// 000000008D50: D3D700CC 0F332954
	v_mfma_i32_16x16x32_i8 v[204:207], a[86:87], v[150:151], v[204:207]// 000000008D58: D3D700CC 0F332D56
	v_mfma_i32_16x16x32_i8 v[208:211], a[88:89], v[132:133], v[208:211]// 000000008D60: D3D700D0 0F430958
	buffer_load_dwordx4 a[24:27], v38, s[12:15], 0 offen       // 000000008D68: E05C1000 80831826
	v_mfma_i32_16x16x32_i8 v[208:211], a[90:91], v[134:135], v[208:211]// 000000008D70: D3D700D0 0F430D5A
	v_mfma_i32_16x16x32_i8 v[212:215], a[88:89], v[148:149], v[212:215]// 000000008D78: D3D700D4 0F532958
	v_mfma_i32_16x16x32_i8 v[212:215], a[90:91], v[150:151], v[212:215]// 000000008D80: D3D700D4 0F532D5A
	v_mfma_i32_16x16x32_i8 v[216:219], a[92:93], v[132:133], v[216:219]// 000000008D88: D3D700D8 0F63095C
	buffer_load_dwordx4 a[28:31], v39, s[12:15], 0 offen       // 000000008D90: E05C1000 80831C27
	s_add_u32 s12, s78, s12                                    // 000000008D98: 800C0C4E
	s_addc_u32 s13, 0, s13                                     // 000000008D9C: 820D0D80
	v_mfma_i32_16x16x32_i8 v[216:219], a[94:95], v[134:135], v[216:219]// 000000008DA0: D3D700D8 0F630D5E
	v_mfma_i32_16x16x32_i8 v[220:223], a[92:93], v[148:149], v[220:223]// 000000008DA8: D3D700DC 0F73295C
	v_mfma_i32_16x16x32_i8 v[220:223], a[94:95], v[150:151], v[220:223]// 000000008DB0: D3D700DC 0F732D5E
	s_waitcnt vmcnt(29)                                        // 000000008DB8: BF8C4F7D
	v_mfma_i32_16x16x32_i8 v[192:195], a[96:97], v[136:137], v[192:195]// 000000008DBC: D3D700C0 0F031160
	buffer_load_dwordx4 a[32:35], v36, s[12:15], 0 offen       // 000000008DC4: E05C1000 80832024
	v_mfma_i32_16x16x32_i8 v[192:195], a[98:99], v[138:139], v[192:195]// 000000008DCC: D3D700C0 0F031562
	v_mfma_i32_16x16x32_i8 v[196:199], a[96:97], v[152:153], v[196:199]// 000000008DD4: D3D700C4 0F133160
	v_mfma_i32_16x16x32_i8 v[196:199], a[98:99], v[154:155], v[196:199]// 000000008DDC: D3D700C4 0F133562
	v_mfma_i32_16x16x32_i8 v[200:203], a[100:101], v[136:137], v[200:203]// 000000008DE4: D3D700C8 0F231164
	buffer_load_dwordx4 a[36:39], v37, s[12:15], 0 offen       // 000000008DEC: E05C1000 80832425
	v_mfma_i32_16x16x32_i8 v[200:203], a[102:103], v[138:139], v[200:203]// 000000008DF4: D3D700C8 0F231566
	v_mfma_i32_16x16x32_i8 v[204:207], a[100:101], v[152:153], v[204:207]// 000000008DFC: D3D700CC 0F333164
	v_mfma_i32_16x16x32_i8 v[204:207], a[102:103], v[154:155], v[204:207]// 000000008E04: D3D700CC 0F333566
	v_mfma_i32_16x16x32_i8 v[208:211], a[104:105], v[136:137], v[208:211]// 000000008E0C: D3D700D0 0F431168
	buffer_load_dwordx4 a[40:43], v38, s[12:15], 0 offen       // 000000008E14: E05C1000 80832826
	v_mfma_i32_16x16x32_i8 v[208:211], a[106:107], v[138:139], v[208:211]// 000000008E1C: D3D700D0 0F43156A
	v_mfma_i32_16x16x32_i8 v[212:215], a[104:105], v[152:153], v[212:215]// 000000008E24: D3D700D4 0F533168
	v_mfma_i32_16x16x32_i8 v[212:215], a[106:107], v[154:155], v[212:215]// 000000008E2C: D3D700D4 0F53356A
	v_mfma_i32_16x16x32_i8 v[216:219], a[108:109], v[136:137], v[216:219]// 000000008E34: D3D700D8 0F63116C
	buffer_load_dwordx4 a[44:47], v39, s[12:15], 0 offen       // 000000008E3C: E05C1000 80832C27
	s_add_u32 s12, s78, s12                                    // 000000008E44: 800C0C4E
	s_addc_u32 s13, 0, s13                                     // 000000008E48: 820D0D80
	v_mfma_i32_16x16x32_i8 v[216:219], a[110:111], v[138:139], v[216:219]// 000000008E4C: D3D700D8 0F63156E
	v_mfma_i32_16x16x32_i8 v[220:223], a[108:109], v[152:153], v[220:223]// 000000008E54: D3D700DC 0F73316C
	v_mfma_i32_16x16x32_i8 v[220:223], a[110:111], v[154:155], v[220:223]// 000000008E5C: D3D700DC 0F73356E
	s_waitcnt vmcnt(28)                                        // 000000008E64: BF8C4F7C
	v_mfma_i32_16x16x32_i8 v[192:195], a[112:113], v[140:141], v[192:195]// 000000008E68: D3D700C0 0F031970
	buffer_load_dwordx4 a[48:51], v36, s[12:15], 0 offen       // 000000008E70: E05C1000 80833024
	v_mfma_i32_16x16x32_i8 v[192:195], a[114:115], v[142:143], v[192:195]// 000000008E78: D3D700C0 0F031D72
	v_mfma_i32_16x16x32_i8 v[196:199], a[112:113], v[156:157], v[196:199]// 000000008E80: D3D700C4 0F133970
	buffer_load_dword v11, v5, s[16:19], 0 offen               // 000000008E88: E0501000 80040B05
	v_mfma_i32_16x16x32_i8 v[196:199], a[114:115], v[158:159], v[196:199]// 000000008E90: D3D700C4 0F133D72
	v_mfma_i32_16x16x32_i8 v[200:203], a[116:117], v[140:141], v[200:203]// 000000008E98: D3D700C8 0F231974
	buffer_load_dwordx4 a[52:55], v37, s[12:15], 0 offen       // 000000008EA0: E05C1000 80833425
	v_mfma_i32_16x16x32_i8 v[200:203], a[118:119], v[142:143], v[200:203]// 000000008EA8: D3D700C8 0F231D76
	v_mfma_i32_16x16x32_i8 v[204:207], a[116:117], v[156:157], v[204:207]// 000000008EB0: D3D700CC 0F333974
	v_mfma_i32_16x16x32_i8 v[204:207], a[118:119], v[158:159], v[204:207]// 000000008EB8: D3D700CC 0F333D76
	v_mfma_i32_16x16x32_i8 v[208:211], a[120:121], v[140:141], v[208:211]// 000000008EC0: D3D700D0 0F431978
	buffer_load_dwordx4 a[56:59], v38, s[12:15], 0 offen       // 000000008EC8: E05C1000 80833826
	v_mfma_i32_16x16x32_i8 v[208:211], a[122:123], v[142:143], v[208:211]// 000000008ED0: D3D700D0 0F431D7A
	v_mfma_i32_16x16x32_i8 v[212:215], a[120:121], v[156:157], v[212:215]// 000000008ED8: D3D700D4 0F533978
	v_mfma_i32_16x16x32_i8 v[212:215], a[122:123], v[158:159], v[212:215]// 000000008EE0: D3D700D4 0F533D7A
	v_mfma_i32_16x16x32_i8 v[216:219], a[124:125], v[140:141], v[216:219]// 000000008EE8: D3D700D8 0F63197C
	buffer_load_dwordx4 a[60:63], v39, s[12:15], 0 offen       // 000000008EF0: E05C1000 80833C27
	v_mfma_i32_16x16x32_i8 v[216:219], a[126:127], v[142:143], v[216:219]// 000000008EF8: D3D700D8 0F631D7E
	v_mfma_i32_16x16x32_i8 v[220:223], a[124:125], v[156:157], v[220:223]// 000000008F00: D3D700DC 0F73397C
	v_mfma_i32_16x16x32_i8 v[220:223], a[126:127], v[158:159], v[220:223]// 000000008F08: D3D700DC 0F733D7E
	s_add_u32 s60, 0x200, s80                                  // 000000008F10: 803C50FF 00000200
	s_cmp_lt_u32 s60, s81                                      // 000000008F18: BF0A513C
	s_cselect_b32 s56, s56, 0                                  // 000000008F1C: 85388038
	s_cselect_b32 s78, s78, 0                                  // 000000008F20: 854E804E
	s_cselect_b32 s79, s79, 0                                  // 000000008F24: 854F804F
	s_add_u32 s12, s56, s12                                    // 000000008F28: 800C0C38
	s_addc_u32 s13, 0, s13                                     // 000000008F2C: 820D0D80
	s_add_u32 s16, s79, s16                                    // 000000008F30: 8010104F
	s_addc_u32 s17, 0, s17                                     // 000000008F34: 82111180
	v_cvt_f32_i32_e32 v192, v192                               // 000000008F38: 7F800BC0
	v_cvt_f32_i32_e32 v193, v193                               // 000000008F3C: 7F820BC1
	v_cvt_f32_i32_e32 v194, v194                               // 000000008F40: 7F840BC2
	v_cvt_f32_i32_e32 v195, v195                               // 000000008F44: 7F860BC3
	v_mul_f32_e32 v192, v22, v192                              // 000000008F48: 0B818116
	v_mul_f32_e32 v193, v22, v193                              // 000000008F4C: 0B838316
	v_mul_f32_e32 v194, v22, v194                              // 000000008F50: 0B858516
	v_mul_f32_e32 v195, v22, v195                              // 000000008F54: 0B878716
	v_mul_f32_dpp v192, v12, v192 row_newbcast:0 row_mask:0xf bank_mask:0xf// 000000008F58: 0B8180FA FF01500C
	v_mul_f32_dpp v193, v12, v193 row_newbcast:1 row_mask:0xf bank_mask:0xf// 000000008F60: 0B8382FA FF01510C
	v_mul_f32_dpp v194, v12, v194 row_newbcast:2 row_mask:0xf bank_mask:0xf// 000000008F68: 0B8584FA FF01520C
	v_mul_f32_dpp v195, v12, v195 row_newbcast:3 row_mask:0xf bank_mask:0xf// 000000008F70: 0B8786FA FF01530C
	v_mul_f32_e32 v192, v17, v192                              // 000000008F78: 0B818111
	v_mul_f32_e32 v193, v17, v193                              // 000000008F7C: 0B838311
	v_mul_f32_e32 v194, v17, v194                              // 000000008F80: 0B858511
	v_mul_f32_e32 v195, v17, v195                              // 000000008F84: 0B878711
	v_cvt_f32_i32_e32 v196, v196                               // 000000008F88: 7F880BC4
	v_cvt_f32_i32_e32 v197, v197                               // 000000008F8C: 7F8A0BC5
	v_cvt_f32_i32_e32 v198, v198                               // 000000008F90: 7F8C0BC6
	v_cvt_f32_i32_e32 v199, v199                               // 000000008F94: 7F8E0BC7
	v_mul_f32_e32 v196, v23, v196                              // 000000008F98: 0B898917
	v_mul_f32_e32 v197, v23, v197                              // 000000008F9C: 0B8B8B17
	v_mul_f32_e32 v198, v23, v198                              // 000000008FA0: 0B8D8D17
	v_mul_f32_e32 v199, v23, v199                              // 000000008FA4: 0B8F8F17
	v_mul_f32_dpp v196, v12, v196 row_newbcast:0 row_mask:0xf bank_mask:0xf// 000000008FA8: 0B8988FA FF01500C
	v_mul_f32_dpp v197, v12, v197 row_newbcast:1 row_mask:0xf bank_mask:0xf// 000000008FB0: 0B8B8AFA FF01510C
	v_mul_f32_dpp v198, v12, v198 row_newbcast:2 row_mask:0xf bank_mask:0xf// 000000008FB8: 0B8D8CFA FF01520C
	v_mul_f32_dpp v199, v12, v199 row_newbcast:3 row_mask:0xf bank_mask:0xf// 000000008FC0: 0B8F8EFA FF01530C
	v_mul_f32_e32 v196, v18, v196                              // 000000008FC8: 0B898912
	v_mul_f32_e32 v197, v18, v197                              // 000000008FCC: 0B8B8B12
	v_mul_f32_e32 v198, v18, v198                              // 000000008FD0: 0B8D8D12
	v_mul_f32_e32 v199, v18, v199                              // 000000008FD4: 0B8F8F12
	v_cvt_f32_i32_e32 v200, v200                               // 000000008FD8: 7F900BC8
	v_cvt_f32_i32_e32 v201, v201                               // 000000008FDC: 7F920BC9
	v_cvt_f32_i32_e32 v202, v202                               // 000000008FE0: 7F940BCA
	v_cvt_f32_i32_e32 v203, v203                               // 000000008FE4: 7F960BCB
	v_mul_f32_e32 v200, v22, v200                              // 000000008FE8: 0B919116
	v_mul_f32_e32 v201, v22, v201                              // 000000008FEC: 0B939316
	v_mul_f32_e32 v202, v22, v202                              // 000000008FF0: 0B959516
	v_mul_f32_e32 v203, v22, v203                              // 000000008FF4: 0B979716
	v_mul_f32_dpp v200, v12, v200 row_newbcast:4 row_mask:0xf bank_mask:0xf// 000000008FF8: 0B9190FA FF01540C
	v_mul_f32_dpp v201, v12, v201 row_newbcast:5 row_mask:0xf bank_mask:0xf// 000000009000: 0B9392FA FF01550C
	v_mul_f32_dpp v202, v12, v202 row_newbcast:6 row_mask:0xf bank_mask:0xf// 000000009008: 0B9594FA FF01560C
	v_mul_f32_dpp v203, v12, v203 row_newbcast:7 row_mask:0xf bank_mask:0xf// 000000009010: 0B9796FA FF01570C
	v_mul_f32_e32 v200, v17, v200                              // 000000009018: 0B919111
	v_mul_f32_e32 v201, v17, v201                              // 00000000901C: 0B939311
	v_mul_f32_e32 v202, v17, v202                              // 000000009020: 0B959511
	v_mul_f32_e32 v203, v17, v203                              // 000000009024: 0B979711
	v_cvt_f32_i32_e32 v204, v204                               // 000000009028: 7F980BCC
	v_cvt_f32_i32_e32 v205, v205                               // 00000000902C: 7F9A0BCD
	v_cvt_f32_i32_e32 v206, v206                               // 000000009030: 7F9C0BCE
	v_cvt_f32_i32_e32 v207, v207                               // 000000009034: 7F9E0BCF
	v_mul_f32_e32 v204, v23, v204                              // 000000009038: 0B999917
	v_mul_f32_e32 v205, v23, v205                              // 00000000903C: 0B9B9B17
	v_mul_f32_e32 v206, v23, v206                              // 000000009040: 0B9D9D17
	v_mul_f32_e32 v207, v23, v207                              // 000000009044: 0B9F9F17
	v_mul_f32_dpp v204, v12, v204 row_newbcast:4 row_mask:0xf bank_mask:0xf// 000000009048: 0B9998FA FF01540C
	v_mul_f32_dpp v205, v12, v205 row_newbcast:5 row_mask:0xf bank_mask:0xf// 000000009050: 0B9B9AFA FF01550C
	v_mul_f32_dpp v206, v12, v206 row_newbcast:6 row_mask:0xf bank_mask:0xf// 000000009058: 0B9D9CFA FF01560C
	v_mul_f32_dpp v207, v12, v207 row_newbcast:7 row_mask:0xf bank_mask:0xf// 000000009060: 0B9F9EFA FF01570C
	v_mul_f32_e32 v204, v18, v204                              // 000000009068: 0B999912
	v_mul_f32_e32 v205, v18, v205                              // 00000000906C: 0B9B9B12
	v_mul_f32_e32 v206, v18, v206                              // 000000009070: 0B9D9D12
	v_mul_f32_e32 v207, v18, v207                              // 000000009074: 0B9F9F12
	v_cvt_f32_i32_e32 v208, v208                               // 000000009078: 7FA00BD0
	v_cvt_f32_i32_e32 v209, v209                               // 00000000907C: 7FA20BD1
	v_cvt_f32_i32_e32 v210, v210                               // 000000009080: 7FA40BD2
	v_cvt_f32_i32_e32 v211, v211                               // 000000009084: 7FA60BD3
	v_mul_f32_e32 v208, v22, v208                              // 000000009088: 0BA1A116
	v_mul_f32_e32 v209, v22, v209                              // 00000000908C: 0BA3A316
	v_mul_f32_e32 v210, v22, v210                              // 000000009090: 0BA5A516
	v_mul_f32_e32 v211, v22, v211                              // 000000009094: 0BA7A716
	v_mul_f32_dpp v208, v12, v208 row_newbcast:8 row_mask:0xf bank_mask:0xf// 000000009098: 0BA1A0FA FF01580C
	v_mul_f32_dpp v209, v12, v209 row_newbcast:9 row_mask:0xf bank_mask:0xf// 0000000090A0: 0BA3A2FA FF01590C
	v_mul_f32_dpp v210, v12, v210 row_newbcast:10 row_mask:0xf bank_mask:0xf// 0000000090A8: 0BA5A4FA FF015A0C
	v_mul_f32_dpp v211, v12, v211 row_newbcast:11 row_mask:0xf bank_mask:0xf// 0000000090B0: 0BA7A6FA FF015B0C
	v_mul_f32_e32 v208, v17, v208                              // 0000000090B8: 0BA1A111
	v_mul_f32_e32 v209, v17, v209                              // 0000000090BC: 0BA3A311
	v_mul_f32_e32 v210, v17, v210                              // 0000000090C0: 0BA5A511
	v_mul_f32_e32 v211, v17, v211                              // 0000000090C4: 0BA7A711
	v_cvt_f32_i32_e32 v212, v212                               // 0000000090C8: 7FA80BD4
	v_cvt_f32_i32_e32 v213, v213                               // 0000000090CC: 7FAA0BD5
	v_cvt_f32_i32_e32 v214, v214                               // 0000000090D0: 7FAC0BD6
	v_cvt_f32_i32_e32 v215, v215                               // 0000000090D4: 7FAE0BD7
	v_mul_f32_e32 v212, v23, v212                              // 0000000090D8: 0BA9A917
	v_mul_f32_e32 v213, v23, v213                              // 0000000090DC: 0BABAB17
	v_mul_f32_e32 v214, v23, v214                              // 0000000090E0: 0BADAD17
	v_mul_f32_e32 v215, v23, v215                              // 0000000090E4: 0BAFAF17
	v_mul_f32_dpp v212, v12, v212 row_newbcast:8 row_mask:0xf bank_mask:0xf// 0000000090E8: 0BA9A8FA FF01580C
	v_mul_f32_dpp v213, v12, v213 row_newbcast:9 row_mask:0xf bank_mask:0xf// 0000000090F0: 0BABAAFA FF01590C
	v_mul_f32_dpp v214, v12, v214 row_newbcast:10 row_mask:0xf bank_mask:0xf// 0000000090F8: 0BADACFA FF015A0C
	v_mul_f32_dpp v215, v12, v215 row_newbcast:11 row_mask:0xf bank_mask:0xf// 000000009100: 0BAFAEFA FF015B0C
	v_mul_f32_e32 v212, v18, v212                              // 000000009108: 0BA9A912
	v_mul_f32_e32 v213, v18, v213                              // 00000000910C: 0BABAB12
	v_mul_f32_e32 v214, v18, v214                              // 000000009110: 0BADAD12
	v_mul_f32_e32 v215, v18, v215                              // 000000009114: 0BAFAF12
	v_cvt_f32_i32_e32 v216, v216                               // 000000009118: 7FB00BD8
	v_cvt_f32_i32_e32 v217, v217                               // 00000000911C: 7FB20BD9
	v_cvt_f32_i32_e32 v218, v218                               // 000000009120: 7FB40BDA
	v_cvt_f32_i32_e32 v219, v219                               // 000000009124: 7FB60BDB
	v_mul_f32_e32 v216, v22, v216                              // 000000009128: 0BB1B116
	v_mul_f32_e32 v217, v22, v217                              // 00000000912C: 0BB3B316
	v_mul_f32_e32 v218, v22, v218                              // 000000009130: 0BB5B516
	v_mul_f32_e32 v219, v22, v219                              // 000000009134: 0BB7B716
	v_mul_f32_dpp v216, v12, v216 row_newbcast:12 row_mask:0xf bank_mask:0xf// 000000009138: 0BB1B0FA FF015C0C
	v_mul_f32_dpp v217, v12, v217 row_newbcast:13 row_mask:0xf bank_mask:0xf// 000000009140: 0BB3B2FA FF015D0C
	v_mul_f32_dpp v218, v12, v218 row_newbcast:14 row_mask:0xf bank_mask:0xf// 000000009148: 0BB5B4FA FF015E0C
	v_mul_f32_dpp v219, v12, v219 row_newbcast:15 row_mask:0xf bank_mask:0xf// 000000009150: 0BB7B6FA FF015F0C
	v_mul_f32_e32 v216, v17, v216                              // 000000009158: 0BB1B111
	v_mul_f32_e32 v217, v17, v217                              // 00000000915C: 0BB3B311
	v_mul_f32_e32 v218, v17, v218                              // 000000009160: 0BB5B511
	v_mul_f32_e32 v219, v17, v219                              // 000000009164: 0BB7B711
	v_cvt_f32_i32_e32 v220, v220                               // 000000009168: 7FB80BDC
	v_cvt_f32_i32_e32 v221, v221                               // 00000000916C: 7FBA0BDD
	v_cvt_f32_i32_e32 v222, v222                               // 000000009170: 7FBC0BDE
	v_cvt_f32_i32_e32 v223, v223                               // 000000009174: 7FBE0BDF
	v_mul_f32_e32 v220, v23, v220                              // 000000009178: 0BB9B917
	v_mul_f32_e32 v221, v23, v221                              // 00000000917C: 0BBBBB17
	v_mul_f32_e32 v222, v23, v222                              // 000000009180: 0BBDBD17
	v_mul_f32_e32 v223, v23, v223                              // 000000009184: 0BBFBF17
	v_mul_f32_dpp v220, v12, v220 row_newbcast:12 row_mask:0xf bank_mask:0xf// 000000009188: 0BB9B8FA FF015C0C
	v_mul_f32_dpp v221, v12, v221 row_newbcast:13 row_mask:0xf bank_mask:0xf// 000000009190: 0BBBBAFA FF015D0C
	v_mul_f32_dpp v222, v12, v222 row_newbcast:14 row_mask:0xf bank_mask:0xf// 000000009198: 0BBDBCFA FF015E0C
	v_mul_f32_dpp v223, v12, v223 row_newbcast:15 row_mask:0xf bank_mask:0xf// 0000000091A0: 0BBFBEFA FF015F0C
	v_mul_f32_e32 v220, v18, v220                              // 0000000091A8: 0BB9B912
	v_mul_f32_e32 v221, v18, v221                              // 0000000091AC: 0BBBBB12
	v_mul_f32_e32 v222, v18, v222                              // 0000000091B0: 0BBDBD12
	v_mul_f32_e32 v223, v18, v223                              // 0000000091B4: 0BBFBF12
	v_cmp_u_f32_e64 s[48:49], v192, v192                       // 0000000091B8: D0480030 000381C0
	v_add3_u32 v40, v192, v43, 1                               // 0000000091C0: D1FF0028 020657C0
	v_cndmask_b32_e64 v46, v40, v42, s[48:49]                  // 0000000091C8: D100002E 00C25528
	v_cmp_u_f32_e64 s[48:49], v193, v193                       // 0000000091D0: D0480030 000383C1
	v_add3_u32 v40, v193, v43, 1                               // 0000000091D8: D1FF0028 020657C1
	v_cndmask_b32_e64 v47, v40, v42, s[48:49]                  // 0000000091E0: D100002F 00C25528
	v_perm_b32 v192, v47, v46, s52                             // 0000000091E8: D1ED00C0 00D25D2F
	v_cmp_u_f32_e64 s[48:49], v194, v194                       // 0000000091F0: D0480030 000385C2
	v_add3_u32 v40, v194, v43, 1                               // 0000000091F8: D1FF0028 020657C2
	v_cndmask_b32_e64 v46, v40, v42, s[48:49]                  // 000000009200: D100002E 00C25528
	v_cmp_u_f32_e64 s[48:49], v195, v195                       // 000000009208: D0480030 000387C3
	v_add3_u32 v40, v195, v43, 1                               // 000000009210: D1FF0028 020657C3
	v_cndmask_b32_e64 v47, v40, v42, s[48:49]                  // 000000009218: D100002F 00C25528
	v_perm_b32 v193, v47, v46, s52                             // 000000009220: D1ED00C1 00D25D2F
	v_cmp_u_f32_e64 s[48:49], v196, v196                       // 000000009228: D0480030 000389C4
	v_add3_u32 v40, v196, v43, 1                               // 000000009230: D1FF0028 020657C4
	v_cndmask_b32_e64 v46, v40, v42, s[48:49]                  // 000000009238: D100002E 00C25528
	v_cmp_u_f32_e64 s[48:49], v197, v197                       // 000000009240: D0480030 00038BC5
	v_add3_u32 v40, v197, v43, 1                               // 000000009248: D1FF0028 020657C5
	v_cndmask_b32_e64 v47, v40, v42, s[48:49]                  // 000000009250: D100002F 00C25528
	v_perm_b32 v194, v47, v46, s52                             // 000000009258: D1ED00C2 00D25D2F
	v_cmp_u_f32_e64 s[48:49], v198, v198                       // 000000009260: D0480030 00038DC6
	v_add3_u32 v40, v198, v43, 1                               // 000000009268: D1FF0028 020657C6
	v_cndmask_b32_e64 v46, v40, v42, s[48:49]                  // 000000009270: D100002E 00C25528
	v_cmp_u_f32_e64 s[48:49], v199, v199                       // 000000009278: D0480030 00038FC7
	v_add3_u32 v40, v199, v43, 1                               // 000000009280: D1FF0028 020657C7
	v_cndmask_b32_e64 v47, v40, v42, s[48:49]                  // 000000009288: D100002F 00C25528
	v_perm_b32 v195, v47, v46, s52                             // 000000009290: D1ED00C3 00D25D2F
	v_cmp_u_f32_e64 s[48:49], v200, v200                       // 000000009298: D0480030 000391C8
	v_add3_u32 v40, v200, v43, 1                               // 0000000092A0: D1FF0028 020657C8
	v_cndmask_b32_e64 v46, v40, v42, s[48:49]                  // 0000000092A8: D100002E 00C25528
	v_cmp_u_f32_e64 s[48:49], v201, v201                       // 0000000092B0: D0480030 000393C9
	v_add3_u32 v40, v201, v43, 1                               // 0000000092B8: D1FF0028 020657C9
	v_cndmask_b32_e64 v47, v40, v42, s[48:49]                  // 0000000092C0: D100002F 00C25528
	v_perm_b32 v196, v47, v46, s52                             // 0000000092C8: D1ED00C4 00D25D2F
	v_cmp_u_f32_e64 s[48:49], v202, v202                       // 0000000092D0: D0480030 000395CA
	v_add3_u32 v40, v202, v43, 1                               // 0000000092D8: D1FF0028 020657CA
	v_cndmask_b32_e64 v46, v40, v42, s[48:49]                  // 0000000092E0: D100002E 00C25528
	v_cmp_u_f32_e64 s[48:49], v203, v203                       // 0000000092E8: D0480030 000397CB
	v_add3_u32 v40, v203, v43, 1                               // 0000000092F0: D1FF0028 020657CB
	v_cndmask_b32_e64 v47, v40, v42, s[48:49]                  // 0000000092F8: D100002F 00C25528
	v_perm_b32 v197, v47, v46, s52                             // 000000009300: D1ED00C5 00D25D2F
	v_cmp_u_f32_e64 s[48:49], v204, v204                       // 000000009308: D0480030 000399CC
	v_add3_u32 v40, v204, v43, 1                               // 000000009310: D1FF0028 020657CC
	v_cndmask_b32_e64 v46, v40, v42, s[48:49]                  // 000000009318: D100002E 00C25528
	v_cmp_u_f32_e64 s[48:49], v205, v205                       // 000000009320: D0480030 00039BCD
	v_add3_u32 v40, v205, v43, 1                               // 000000009328: D1FF0028 020657CD
	v_cndmask_b32_e64 v47, v40, v42, s[48:49]                  // 000000009330: D100002F 00C25528
	v_perm_b32 v198, v47, v46, s52                             // 000000009338: D1ED00C6 00D25D2F
	v_cmp_u_f32_e64 s[48:49], v206, v206                       // 000000009340: D0480030 00039DCE
	v_add3_u32 v40, v206, v43, 1                               // 000000009348: D1FF0028 020657CE
	v_cndmask_b32_e64 v46, v40, v42, s[48:49]                  // 000000009350: D100002E 00C25528
	v_cmp_u_f32_e64 s[48:49], v207, v207                       // 000000009358: D0480030 00039FCF
	v_add3_u32 v40, v207, v43, 1                               // 000000009360: D1FF0028 020657CF
	v_cndmask_b32_e64 v47, v40, v42, s[48:49]                  // 000000009368: D100002F 00C25528
	v_perm_b32 v199, v47, v46, s52                             // 000000009370: D1ED00C7 00D25D2F
	v_cmp_u_f32_e64 s[48:49], v208, v208                       // 000000009378: D0480030 0003A1D0
	v_add3_u32 v40, v208, v43, 1                               // 000000009380: D1FF0028 020657D0
	v_cndmask_b32_e64 v46, v40, v42, s[48:49]                  // 000000009388: D100002E 00C25528
	v_cmp_u_f32_e64 s[48:49], v209, v209                       // 000000009390: D0480030 0003A3D1
	v_add3_u32 v40, v209, v43, 1                               // 000000009398: D1FF0028 020657D1
	v_cndmask_b32_e64 v47, v40, v42, s[48:49]                  // 0000000093A0: D100002F 00C25528
	v_perm_b32 v200, v47, v46, s52                             // 0000000093A8: D1ED00C8 00D25D2F
	v_cmp_u_f32_e64 s[48:49], v210, v210                       // 0000000093B0: D0480030 0003A5D2
	v_add3_u32 v40, v210, v43, 1                               // 0000000093B8: D1FF0028 020657D2
	v_cndmask_b32_e64 v46, v40, v42, s[48:49]                  // 0000000093C0: D100002E 00C25528
	v_cmp_u_f32_e64 s[48:49], v211, v211                       // 0000000093C8: D0480030 0003A7D3
	v_add3_u32 v40, v211, v43, 1                               // 0000000093D0: D1FF0028 020657D3
	v_cndmask_b32_e64 v47, v40, v42, s[48:49]                  // 0000000093D8: D100002F 00C25528
	v_perm_b32 v201, v47, v46, s52                             // 0000000093E0: D1ED00C9 00D25D2F
	v_cmp_u_f32_e64 s[48:49], v212, v212                       // 0000000093E8: D0480030 0003A9D4
	v_add3_u32 v40, v212, v43, 1                               // 0000000093F0: D1FF0028 020657D4
	v_cndmask_b32_e64 v46, v40, v42, s[48:49]                  // 0000000093F8: D100002E 00C25528
	v_cmp_u_f32_e64 s[48:49], v213, v213                       // 000000009400: D0480030 0003ABD5
	v_add3_u32 v40, v213, v43, 1                               // 000000009408: D1FF0028 020657D5
	v_cndmask_b32_e64 v47, v40, v42, s[48:49]                  // 000000009410: D100002F 00C25528
	v_perm_b32 v202, v47, v46, s52                             // 000000009418: D1ED00CA 00D25D2F
	v_cmp_u_f32_e64 s[48:49], v214, v214                       // 000000009420: D0480030 0003ADD6
	v_add3_u32 v40, v214, v43, 1                               // 000000009428: D1FF0028 020657D6
	v_cndmask_b32_e64 v46, v40, v42, s[48:49]                  // 000000009430: D100002E 00C25528
	v_cmp_u_f32_e64 s[48:49], v215, v215                       // 000000009438: D0480030 0003AFD7
	v_add3_u32 v40, v215, v43, 1                               // 000000009440: D1FF0028 020657D7
	v_cndmask_b32_e64 v47, v40, v42, s[48:49]                  // 000000009448: D100002F 00C25528
	v_perm_b32 v203, v47, v46, s52                             // 000000009450: D1ED00CB 00D25D2F
	v_cmp_u_f32_e64 s[48:49], v216, v216                       // 000000009458: D0480030 0003B1D8
	v_add3_u32 v40, v216, v43, 1                               // 000000009460: D1FF0028 020657D8
	v_cndmask_b32_e64 v46, v40, v42, s[48:49]                  // 000000009468: D100002E 00C25528
	v_cmp_u_f32_e64 s[48:49], v217, v217                       // 000000009470: D0480030 0003B3D9
	v_add3_u32 v40, v217, v43, 1                               // 000000009478: D1FF0028 020657D9
	v_cndmask_b32_e64 v47, v40, v42, s[48:49]                  // 000000009480: D100002F 00C25528
	v_perm_b32 v204, v47, v46, s52                             // 000000009488: D1ED00CC 00D25D2F
	v_cmp_u_f32_e64 s[48:49], v218, v218                       // 000000009490: D0480030 0003B5DA
	v_add3_u32 v40, v218, v43, 1                               // 000000009498: D1FF0028 020657DA
	v_cndmask_b32_e64 v46, v40, v42, s[48:49]                  // 0000000094A0: D100002E 00C25528
	v_cmp_u_f32_e64 s[48:49], v219, v219                       // 0000000094A8: D0480030 0003B7DB
	v_add3_u32 v40, v219, v43, 1                               // 0000000094B0: D1FF0028 020657DB
	v_cndmask_b32_e64 v47, v40, v42, s[48:49]                  // 0000000094B8: D100002F 00C25528
	v_perm_b32 v205, v47, v46, s52                             // 0000000094C0: D1ED00CD 00D25D2F
	v_cmp_u_f32_e64 s[48:49], v220, v220                       // 0000000094C8: D0480030 0003B9DC
	v_add3_u32 v40, v220, v43, 1                               // 0000000094D0: D1FF0028 020657DC
	v_cndmask_b32_e64 v46, v40, v42, s[48:49]                  // 0000000094D8: D100002E 00C25528
	v_cmp_u_f32_e64 s[48:49], v221, v221                       // 0000000094E0: D0480030 0003BBDD
	v_add3_u32 v40, v221, v43, 1                               // 0000000094E8: D1FF0028 020657DD
	v_cndmask_b32_e64 v47, v40, v42, s[48:49]                  // 0000000094F0: D100002F 00C25528
	v_perm_b32 v206, v47, v46, s52                             // 0000000094F8: D1ED00CE 00D25D2F
	v_cmp_u_f32_e64 s[48:49], v222, v222                       // 000000009500: D0480030 0003BDDE
	v_add3_u32 v40, v222, v43, 1                               // 000000009508: D1FF0028 020657DE
	v_cndmask_b32_e64 v46, v40, v42, s[48:49]                  // 000000009510: D100002E 00C25528
	v_cmp_u_f32_e64 s[48:49], v223, v223                       // 000000009518: D0480030 0003BFDF
	v_add3_u32 v40, v223, v43, 1                               // 000000009520: D1FF0028 020657DF
	v_cndmask_b32_e64 v47, v40, v42, s[48:49]                  // 000000009528: D100002F 00C25528
	v_perm_b32 v207, v47, v46, s52                             // 000000009530: D1ED00CF 00D25D2F
	ds_write_b64 v3, v[192:193] offset:26880                   // 000000009538: D89A6900 0000C003
	ds_write_b64 v3, v[194:195] offset:35584                   // 000000009540: D89A8B00 0000C203
	ds_write_b64 v3, v[196:197] offset:29056                   // 000000009548: D89A7180 0000C403
	ds_write_b64 v3, v[198:199] offset:37760                   // 000000009550: D89A9380 0000C603
	ds_write_b64 v3, v[200:201] offset:31232                   // 000000009558: D89A7A00 0000C803
	ds_write_b64 v3, v[202:203] offset:39936                   // 000000009560: D89A9C00 0000CA03
	ds_write_b64 v3, v[204:205] offset:33408                   // 000000009568: D89A8280 0000CC03
	ds_write_b64 v3, v[206:207] offset:42112                   // 000000009570: D89AA480 0000CE03
	s_waitcnt lgkmcnt(0)                                       // 000000009578: BF8CC07F
	s_barrier                                                  // 00000000957C: BF8A0000
	ds_read_b32 v64, v4 offset:26880                           // 000000009580: D86C6900 40000004
	ds_read_b32 v65, v4 offset:31232                           // 000000009588: D86C7A00 41000004
	ds_read_b32 v66, v4 offset:26912                           // 000000009590: D86C6920 42000004
	ds_read_b32 v67, v4 offset:31264                           // 000000009598: D86C7A20 43000004
	ds_read_b32 v68, v4 offset:26944                           // 0000000095A0: D86C6940 44000004
	ds_read_b32 v69, v4 offset:31296                           // 0000000095A8: D86C7A40 45000004
	ds_read_b32 v70, v4 offset:26976                           // 0000000095B0: D86C6960 46000004
	ds_read_b32 v71, v4 offset:31328                           // 0000000095B8: D86C7A60 47000004
	ds_read_b32 v72, v4 offset:35584                           // 0000000095C0: D86C8B00 48000004
	ds_read_b32 v73, v4 offset:39936                           // 0000000095C8: D86C9C00 49000004
	ds_read_b32 v74, v4 offset:35616                           // 0000000095D0: D86C8B20 4A000004
	ds_read_b32 v75, v4 offset:39968                           // 0000000095D8: D86C9C20 4B000004
	ds_read_b32 v76, v4 offset:35648                           // 0000000095E0: D86C8B40 4C000004
	ds_read_b32 v77, v4 offset:40000                           // 0000000095E8: D86C9C40 4D000004
	ds_read_b32 v78, v4 offset:35680                           // 0000000095F0: D86C8B60 4E000004
	ds_read_b32 v79, v4 offset:40032                           // 0000000095F8: D86C9C60 4F000004
	s_waitcnt lgkmcnt(0)                                       // 000000009600: BF8CC07F
	s_mov_b64 exec, s[20:21]                                   // 000000009604: BEFE0114
	global_atomic_pk_add_bf16 v80, v64, s[8:9]                 // 000000009608: DD488000 00084050
	s_mov_b64 exec, s[36:37]                                   // 000000009610: BEFE0124
	s_mov_b64 exec, s[20:21]                                   // 000000009614: BEFE0114
	global_atomic_pk_add_bf16 v80, v65, s[8:9] offset:256      // 000000009618: DD488100 00084150
	s_mov_b64 exec, s[36:37]                                   // 000000009620: BEFE0124
	s_mov_b64 exec, s[22:23]                                   // 000000009624: BEFE0116
	global_atomic_pk_add_bf16 v82, v66, s[8:9]                 // 000000009628: DD488000 00084252
	s_mov_b64 exec, s[36:37]                                   // 000000009630: BEFE0124
	s_mov_b64 exec, s[22:23]                                   // 000000009634: BEFE0116
	global_atomic_pk_add_bf16 v82, v67, s[8:9] offset:256      // 000000009638: DD488100 00084352
	s_mov_b64 exec, s[36:37]                                   // 000000009640: BEFE0124
	s_mov_b64 exec, s[24:25]                                   // 000000009644: BEFE0118
	global_atomic_pk_add_bf16 v84, v68, s[8:9]                 // 000000009648: DD488000 00084454
	s_mov_b64 exec, s[36:37]                                   // 000000009650: BEFE0124
	s_mov_b64 exec, s[24:25]                                   // 000000009654: BEFE0118
	global_atomic_pk_add_bf16 v84, v69, s[8:9] offset:256      // 000000009658: DD488100 00084554
	s_mov_b64 exec, s[36:37]                                   // 000000009660: BEFE0124
	s_mov_b64 exec, s[26:27]                                   // 000000009664: BEFE011A
	global_atomic_pk_add_bf16 v86, v70, s[8:9]                 // 000000009668: DD488000 00084656
	s_mov_b64 exec, s[36:37]                                   // 000000009670: BEFE0124
	s_mov_b64 exec, s[26:27]                                   // 000000009674: BEFE011A
	global_atomic_pk_add_bf16 v86, v71, s[8:9] offset:256      // 000000009678: DD488100 00084756
	s_mov_b64 exec, s[36:37]                                   // 000000009680: BEFE0124
	s_mov_b64 exec, s[28:29]                                   // 000000009684: BEFE011C
	global_atomic_pk_add_bf16 v88, v72, s[8:9]                 // 000000009688: DD488000 00084858
	s_mov_b64 exec, s[36:37]                                   // 000000009690: BEFE0124
	s_mov_b64 exec, s[28:29]                                   // 000000009694: BEFE011C
	global_atomic_pk_add_bf16 v88, v73, s[8:9] offset:256      // 000000009698: DD488100 00084958
	s_mov_b64 exec, s[36:37]                                   // 0000000096A0: BEFE0124
	s_mov_b64 exec, s[30:31]                                   // 0000000096A4: BEFE011E
	global_atomic_pk_add_bf16 v90, v74, s[8:9]                 // 0000000096A8: DD488000 00084A5A
	s_mov_b64 exec, s[36:37]                                   // 0000000096B0: BEFE0124
	s_mov_b64 exec, s[30:31]                                   // 0000000096B4: BEFE011E
	global_atomic_pk_add_bf16 v90, v75, s[8:9] offset:256      // 0000000096B8: DD488100 00084B5A
	s_mov_b64 exec, s[36:37]                                   // 0000000096C0: BEFE0124
	s_mov_b64 exec, s[32:33]                                   // 0000000096C4: BEFE0120
	global_atomic_pk_add_bf16 v92, v76, s[8:9]                 // 0000000096C8: DD488000 00084C5C
	s_mov_b64 exec, s[36:37]                                   // 0000000096D0: BEFE0124
	s_mov_b64 exec, s[32:33]                                   // 0000000096D4: BEFE0120
	global_atomic_pk_add_bf16 v92, v77, s[8:9] offset:256      // 0000000096D8: DD488100 00084D5C
	s_mov_b64 exec, s[36:37]                                   // 0000000096E0: BEFE0124
	s_mov_b64 exec, s[34:35]                                   // 0000000096E4: BEFE0122
	global_atomic_pk_add_bf16 v94, v78, s[8:9]                 // 0000000096E8: DD488000 00084E5E
	s_mov_b64 exec, s[36:37]                                   // 0000000096F0: BEFE0124
	s_mov_b64 exec, s[34:35]                                   // 0000000096F4: BEFE0122
	global_atomic_pk_add_bf16 v94, v79, s[8:9] offset:256      // 0000000096F8: DD488100 00084F5E
	s_mov_b64 exec, s[36:37]                                   // 000000009700: BEFE0124
	s_add_u32 s8, s59, s8                                      // 000000009704: 8008083B
	s_addc_u32 s9, 0, s9                                       // 000000009708: 82090980
	s_addk_i32 s80, 0x100                                      // 00000000970C: B7500100
	s_cmp_lt_i32 s80, s81                                      // 000000009710: BF045150
	s_cbranch_scc0 label_0E42                                  // 000000009714: BF84F3FC
	s_branch label_14E8                                        // 000000009718: BF82FAA1

000000000000971c <label_1A47>:
	s_waitcnt vmcnt(0) expcnt(0) lgkmcnt(0)                    // 00000000971C: BF8C0000
	s_endpgm                                                   // 000000009720: BF810000
